;; amdgpu-corpus repo=ROCm/rocFFT kind=compiled arch=gfx1030 opt=O3
	.text
	.amdgcn_target "amdgcn-amd-amdhsa--gfx1030"
	.amdhsa_code_object_version 6
	.protected	fft_rtc_back_len1360_factors_17_5_16_wgs_255_tpt_85_halfLds_sp_op_CI_CI_unitstride_sbrr_C2R_dirReg ; -- Begin function fft_rtc_back_len1360_factors_17_5_16_wgs_255_tpt_85_halfLds_sp_op_CI_CI_unitstride_sbrr_C2R_dirReg
	.globl	fft_rtc_back_len1360_factors_17_5_16_wgs_255_tpt_85_halfLds_sp_op_CI_CI_unitstride_sbrr_C2R_dirReg
	.p2align	8
	.type	fft_rtc_back_len1360_factors_17_5_16_wgs_255_tpt_85_halfLds_sp_op_CI_CI_unitstride_sbrr_C2R_dirReg,@function
fft_rtc_back_len1360_factors_17_5_16_wgs_255_tpt_85_halfLds_sp_op_CI_CI_unitstride_sbrr_C2R_dirReg: ; @fft_rtc_back_len1360_factors_17_5_16_wgs_255_tpt_85_halfLds_sp_op_CI_CI_unitstride_sbrr_C2R_dirReg
; %bb.0:
	s_load_dwordx4 s[12:15], s[4:5], 0x0
	v_mul_u32_u24_e32 v1, 0x304, v0
	s_clause 0x1
	s_load_dwordx4 s[8:11], s[4:5], 0x58
	s_load_dwordx4 s[16:19], s[4:5], 0x18
	v_mov_b32_e32 v5, 0
	v_lshrrev_b32_e32 v3, 16, v1
	v_mov_b32_e32 v1, 0
	v_mov_b32_e32 v2, 0
	v_mad_u64_u32 v[3:4], null, s6, 3, v[3:4]
	v_mov_b32_e32 v4, v5
	v_mov_b32_e32 v33, v2
	;; [unrolled: 1-line block ×5, first 2 shown]
	s_waitcnt lgkmcnt(0)
	v_cmp_lt_u64_e64 s0, s[14:15], 2
	s_and_b32 vcc_lo, exec_lo, s0
	s_cbranch_vccnz .LBB0_8
; %bb.1:
	s_load_dwordx2 s[0:1], s[4:5], 0x10
	v_mov_b32_e32 v1, 0
	v_mov_b32_e32 v2, 0
	s_add_u32 s2, s18, 8
	v_mov_b32_e32 v8, v4
	s_addc_u32 s3, s19, 0
	v_mov_b32_e32 v7, v3
	v_mov_b32_e32 v33, v2
	s_add_u32 s6, s16, 8
	v_mov_b32_e32 v32, v1
	s_addc_u32 s7, s17, 0
	s_mov_b64 s[22:23], 1
	s_waitcnt lgkmcnt(0)
	s_add_u32 s20, s0, 8
	s_addc_u32 s21, s1, 0
.LBB0_2:                                ; =>This Inner Loop Header: Depth=1
	s_load_dwordx2 s[24:25], s[20:21], 0x0
                                        ; implicit-def: $vgpr36_vgpr37
	s_mov_b32 s0, exec_lo
	s_waitcnt lgkmcnt(0)
	v_or_b32_e32 v6, s25, v8
	v_cmpx_ne_u64_e32 0, v[5:6]
	s_xor_b32 s1, exec_lo, s0
	s_cbranch_execz .LBB0_4
; %bb.3:                                ;   in Loop: Header=BB0_2 Depth=1
	v_cvt_f32_u32_e32 v4, s24
	v_cvt_f32_u32_e32 v6, s25
	s_sub_u32 s0, 0, s24
	s_subb_u32 s26, 0, s25
	v_fmac_f32_e32 v4, 0x4f800000, v6
	v_rcp_f32_e32 v4, v4
	v_mul_f32_e32 v4, 0x5f7ffffc, v4
	v_mul_f32_e32 v6, 0x2f800000, v4
	v_trunc_f32_e32 v6, v6
	v_fmac_f32_e32 v4, 0xcf800000, v6
	v_cvt_u32_f32_e32 v6, v6
	v_cvt_u32_f32_e32 v4, v4
	v_mul_lo_u32 v9, s0, v6
	v_mul_hi_u32 v10, s0, v4
	v_mul_lo_u32 v11, s26, v4
	v_add_nc_u32_e32 v9, v10, v9
	v_mul_lo_u32 v10, s0, v4
	v_add_nc_u32_e32 v9, v9, v11
	v_mul_hi_u32 v11, v4, v10
	v_mul_lo_u32 v12, v4, v9
	v_mul_hi_u32 v13, v4, v9
	v_mul_hi_u32 v14, v6, v10
	v_mul_lo_u32 v10, v6, v10
	v_mul_hi_u32 v15, v6, v9
	v_mul_lo_u32 v9, v6, v9
	v_add_co_u32 v11, vcc_lo, v11, v12
	v_add_co_ci_u32_e32 v12, vcc_lo, 0, v13, vcc_lo
	v_add_co_u32 v10, vcc_lo, v11, v10
	v_add_co_ci_u32_e32 v10, vcc_lo, v12, v14, vcc_lo
	v_add_co_ci_u32_e32 v11, vcc_lo, 0, v15, vcc_lo
	v_add_co_u32 v9, vcc_lo, v10, v9
	v_add_co_ci_u32_e32 v10, vcc_lo, 0, v11, vcc_lo
	v_add_co_u32 v4, vcc_lo, v4, v9
	v_add_co_ci_u32_e32 v6, vcc_lo, v6, v10, vcc_lo
	v_mul_hi_u32 v9, s0, v4
	v_mul_lo_u32 v11, s26, v4
	v_mul_lo_u32 v10, s0, v6
	v_add_nc_u32_e32 v9, v9, v10
	v_mul_lo_u32 v10, s0, v4
	v_add_nc_u32_e32 v9, v9, v11
	v_mul_hi_u32 v11, v4, v10
	v_mul_lo_u32 v12, v4, v9
	v_mul_hi_u32 v13, v4, v9
	v_mul_hi_u32 v14, v6, v10
	v_mul_lo_u32 v10, v6, v10
	v_mul_hi_u32 v15, v6, v9
	v_mul_lo_u32 v9, v6, v9
	v_add_co_u32 v11, vcc_lo, v11, v12
	v_add_co_ci_u32_e32 v12, vcc_lo, 0, v13, vcc_lo
	v_add_co_u32 v10, vcc_lo, v11, v10
	v_add_co_ci_u32_e32 v10, vcc_lo, v12, v14, vcc_lo
	v_add_co_ci_u32_e32 v11, vcc_lo, 0, v15, vcc_lo
	v_add_co_u32 v9, vcc_lo, v10, v9
	v_add_co_ci_u32_e32 v10, vcc_lo, 0, v11, vcc_lo
	v_add_co_u32 v4, vcc_lo, v4, v9
	v_add_co_ci_u32_e32 v6, vcc_lo, v6, v10, vcc_lo
	v_mul_hi_u32 v15, v7, v4
	v_mad_u64_u32 v[11:12], null, v8, v4, 0
	v_mad_u64_u32 v[9:10], null, v7, v6, 0
	;; [unrolled: 1-line block ×3, first 2 shown]
	v_add_co_u32 v4, vcc_lo, v15, v9
	v_add_co_ci_u32_e32 v6, vcc_lo, 0, v10, vcc_lo
	v_add_co_u32 v4, vcc_lo, v4, v11
	v_add_co_ci_u32_e32 v4, vcc_lo, v6, v12, vcc_lo
	v_add_co_ci_u32_e32 v6, vcc_lo, 0, v14, vcc_lo
	v_add_co_u32 v4, vcc_lo, v4, v13
	v_add_co_ci_u32_e32 v6, vcc_lo, 0, v6, vcc_lo
	v_mul_lo_u32 v11, s25, v4
	v_mad_u64_u32 v[9:10], null, s24, v4, 0
	v_mul_lo_u32 v12, s24, v6
	v_sub_co_u32 v9, vcc_lo, v7, v9
	v_add3_u32 v10, v10, v12, v11
	v_sub_nc_u32_e32 v11, v8, v10
	v_subrev_co_ci_u32_e64 v11, s0, s25, v11, vcc_lo
	v_add_co_u32 v12, s0, v4, 2
	v_add_co_ci_u32_e64 v13, s0, 0, v6, s0
	v_sub_co_u32 v14, s0, v9, s24
	v_sub_co_ci_u32_e32 v10, vcc_lo, v8, v10, vcc_lo
	v_subrev_co_ci_u32_e64 v11, s0, 0, v11, s0
	v_cmp_le_u32_e32 vcc_lo, s24, v14
	v_cmp_eq_u32_e64 s0, s25, v10
	v_cndmask_b32_e64 v14, 0, -1, vcc_lo
	v_cmp_le_u32_e32 vcc_lo, s25, v11
	v_cndmask_b32_e64 v15, 0, -1, vcc_lo
	v_cmp_le_u32_e32 vcc_lo, s24, v9
	;; [unrolled: 2-line block ×3, first 2 shown]
	v_cndmask_b32_e64 v16, 0, -1, vcc_lo
	v_cmp_eq_u32_e32 vcc_lo, s25, v11
	v_cndmask_b32_e64 v9, v16, v9, s0
	v_cndmask_b32_e32 v11, v15, v14, vcc_lo
	v_add_co_u32 v14, vcc_lo, v4, 1
	v_add_co_ci_u32_e32 v15, vcc_lo, 0, v6, vcc_lo
	v_cmp_ne_u32_e32 vcc_lo, 0, v11
	v_cndmask_b32_e32 v10, v15, v13, vcc_lo
	v_cndmask_b32_e32 v11, v14, v12, vcc_lo
	v_cmp_ne_u32_e32 vcc_lo, 0, v9
	v_cndmask_b32_e32 v37, v6, v10, vcc_lo
	v_cndmask_b32_e32 v36, v4, v11, vcc_lo
.LBB0_4:                                ;   in Loop: Header=BB0_2 Depth=1
	s_andn2_saveexec_b32 s0, s1
	s_cbranch_execz .LBB0_6
; %bb.5:                                ;   in Loop: Header=BB0_2 Depth=1
	v_cvt_f32_u32_e32 v4, s24
	s_sub_i32 s1, 0, s24
	v_mov_b32_e32 v37, v5
	v_rcp_iflag_f32_e32 v4, v4
	v_mul_f32_e32 v4, 0x4f7ffffe, v4
	v_cvt_u32_f32_e32 v4, v4
	v_mul_lo_u32 v6, s1, v4
	v_mul_hi_u32 v6, v4, v6
	v_add_nc_u32_e32 v4, v4, v6
	v_mul_hi_u32 v4, v7, v4
	v_mul_lo_u32 v6, v4, s24
	v_add_nc_u32_e32 v9, 1, v4
	v_sub_nc_u32_e32 v6, v7, v6
	v_subrev_nc_u32_e32 v10, s24, v6
	v_cmp_le_u32_e32 vcc_lo, s24, v6
	v_cndmask_b32_e32 v6, v6, v10, vcc_lo
	v_cndmask_b32_e32 v4, v4, v9, vcc_lo
	v_cmp_le_u32_e32 vcc_lo, s24, v6
	v_add_nc_u32_e32 v9, 1, v4
	v_cndmask_b32_e32 v36, v4, v9, vcc_lo
.LBB0_6:                                ;   in Loop: Header=BB0_2 Depth=1
	s_or_b32 exec_lo, exec_lo, s0
	v_mul_lo_u32 v4, v37, s24
	v_mul_lo_u32 v6, v36, s25
	s_load_dwordx2 s[0:1], s[6:7], 0x0
	v_mad_u64_u32 v[9:10], null, v36, s24, 0
	s_load_dwordx2 s[24:25], s[2:3], 0x0
	s_add_u32 s22, s22, 1
	s_addc_u32 s23, s23, 0
	s_add_u32 s2, s2, 8
	s_addc_u32 s3, s3, 0
	s_add_u32 s6, s6, 8
	v_add3_u32 v4, v10, v6, v4
	v_sub_co_u32 v6, vcc_lo, v7, v9
	s_addc_u32 s7, s7, 0
	s_add_u32 s20, s20, 8
	v_sub_co_ci_u32_e32 v4, vcc_lo, v8, v4, vcc_lo
	s_addc_u32 s21, s21, 0
	s_waitcnt lgkmcnt(0)
	v_mul_lo_u32 v7, s0, v4
	v_mul_lo_u32 v8, s1, v6
	v_mad_u64_u32 v[1:2], null, s0, v6, v[1:2]
	v_mul_lo_u32 v4, s24, v4
	v_mul_lo_u32 v9, s25, v6
	v_mad_u64_u32 v[32:33], null, s24, v6, v[32:33]
	v_cmp_ge_u64_e64 s0, s[22:23], s[14:15]
	v_add3_u32 v2, v8, v2, v7
	v_add3_u32 v33, v9, v33, v4
	s_and_b32 vcc_lo, exec_lo, s0
	s_cbranch_vccnz .LBB0_8
; %bb.7:                                ;   in Loop: Header=BB0_2 Depth=1
	v_mov_b32_e32 v7, v36
	v_mov_b32_e32 v8, v37
	s_branch .LBB0_2
.LBB0_8:
	s_load_dwordx2 s[0:1], s[4:5], 0x28
	v_mul_hi_u32 v4, 0xaaaaaaab, v3
	s_lshl_b64 s[4:5], s[14:15], 3
                                        ; implicit-def: $vgpr34
	s_add_u32 s2, s18, s4
	s_addc_u32 s3, s19, s5
	v_lshrrev_b32_e32 v4, 1, v4
	v_lshl_add_u32 v5, v4, 1, v4
	v_mul_hi_u32 v4, 0x3030304, v0
	v_sub_nc_u32_e32 v3, v3, v5
	s_waitcnt lgkmcnt(0)
	v_cmp_gt_u64_e32 vcc_lo, s[0:1], v[36:37]
	v_cmp_le_u64_e64 s0, s[0:1], v[36:37]
	s_and_saveexec_b32 s1, s0
	s_xor_b32 s0, exec_lo, s1
; %bb.9:
	v_mul_u32_u24_e32 v1, 0x55, v4
                                        ; implicit-def: $vgpr4
	v_sub_nc_u32_e32 v34, v0, v1
                                        ; implicit-def: $vgpr0
                                        ; implicit-def: $vgpr1_vgpr2
; %bb.10:
	s_or_saveexec_b32 s1, s0
	s_load_dwordx2 s[2:3], s[2:3], 0x0
	v_mul_u32_u24_e32 v3, 0x551, v3
	v_lshlrev_b32_e32 v58, 3, v3
	s_xor_b32 exec_lo, exec_lo, s1
	s_cbranch_execz .LBB0_14
; %bb.11:
	s_add_u32 s4, s16, s4
	s_addc_u32 s5, s17, s5
	v_lshlrev_b64 v[1:2], 3, v[1:2]
	s_load_dwordx2 s[4:5], s[4:5], 0x0
	s_waitcnt lgkmcnt(0)
	v_mul_lo_u32 v7, s5, v36
	v_mul_lo_u32 v8, s4, v37
	v_mad_u64_u32 v[5:6], null, s4, v36, 0
	s_mov_b32 s4, exec_lo
	v_add3_u32 v6, v6, v8, v7
	v_mul_u32_u24_e32 v7, 0x55, v4
	v_lshlrev_b64 v[4:5], 3, v[5:6]
	v_sub_nc_u32_e32 v34, v0, v7
	v_lshlrev_b32_e32 v35, 3, v34
	v_add_co_u32 v0, s0, s8, v4
	v_add_co_ci_u32_e64 v4, s0, s9, v5, s0
	v_add_co_u32 v0, s0, v0, v1
	v_add_co_ci_u32_e64 v1, s0, v4, v2, s0
	v_add3_u32 v2, 0, v58, v35
	v_add_co_u32 v4, s0, v0, v35
	v_add_co_ci_u32_e64 v5, s0, 0, v1, s0
	s_clause 0x3
	global_load_dwordx2 v[6:7], v[4:5], off
	global_load_dwordx2 v[8:9], v[4:5], off offset:680
	global_load_dwordx2 v[10:11], v[4:5], off offset:1360
	;; [unrolled: 1-line block ×3, first 2 shown]
	v_add_co_u32 v14, s0, 0x800, v4
	v_add_co_ci_u32_e64 v15, s0, 0, v5, s0
	v_add_co_u32 v16, s0, 0x1000, v4
	v_add_co_ci_u32_e64 v17, s0, 0, v5, s0
	;; [unrolled: 2-line block ×4, first 2 shown]
	s_clause 0xb
	global_load_dwordx2 v[20:21], v[14:15], off offset:672
	global_load_dwordx2 v[22:23], v[14:15], off offset:1352
	;; [unrolled: 1-line block ×12, first 2 shown]
	v_add_nc_u32_e32 v35, 0x800, v2
	v_add_nc_u32_e32 v42, 0xc00, v2
	;; [unrolled: 1-line block ×6, first 2 shown]
	s_waitcnt vmcnt(14)
	ds_write2_b64 v2, v[6:7], v[8:9] offset1:85
	s_waitcnt vmcnt(12)
	ds_write2_b64 v2, v[10:11], v[12:13] offset0:170 offset1:255
	s_waitcnt vmcnt(10)
	ds_write2_b64 v35, v[20:21], v[22:23] offset0:84 offset1:169
	s_waitcnt vmcnt(8)
	ds_write2_b64 v42, v[14:15], v[24:25] offset0:126 offset1:211
	s_waitcnt vmcnt(6)
	ds_write2_b64 v43, v[26:27], v[16:17] offset0:168 offset1:253
	s_waitcnt vmcnt(4)
	ds_write2_b64 v44, v[28:29], v[30:31] offset0:82 offset1:167
	s_waitcnt vmcnt(2)
	ds_write2_b64 v45, v[18:19], v[38:39] offset0:124 offset1:209
	s_waitcnt vmcnt(0)
	ds_write2_b64 v46, v[40:41], v[4:5] offset0:166 offset1:251
	v_cmpx_eq_u32_e32 0x54, v34
	s_cbranch_execz .LBB0_13
; %bb.12:
	v_add_co_u32 v0, s0, 0x2800, v0
	v_add_co_ci_u32_e64 v1, s0, 0, v1, s0
	v_mov_b32_e32 v34, 0x54
	global_load_dwordx2 v[0:1], v[0:1], off offset:640
	s_waitcnt vmcnt(0)
	ds_write_b64 v2, v[0:1] offset:10208
.LBB0_13:
	s_or_b32 exec_lo, exec_lo, s4
.LBB0_14:
	s_or_b32 exec_lo, exec_lo, s1
	v_lshl_add_u32 v56, v3, 3, 0
	v_lshlrev_b32_e32 v5, 3, v34
	s_waitcnt lgkmcnt(0)
	s_barrier
	buffer_gl0_inv
	s_add_u32 s1, s12, 0x29f8
	v_add_nc_u32_e32 v57, v56, v5
	v_sub_nc_u32_e32 v4, v56, v5
	s_addc_u32 s4, s13, 0
	s_mov_b32 s5, exec_lo
	ds_read_b32 v6, v57
	ds_read_b32 v7, v4 offset:10880
                                        ; implicit-def: $vgpr2_vgpr3
	s_waitcnt lgkmcnt(0)
	v_add_f32_e32 v0, v7, v6
	v_sub_f32_e32 v1, v6, v7
	v_cmpx_ne_u32_e32 0, v34
	s_xor_b32 s5, exec_lo, s5
	s_cbranch_execz .LBB0_16
; %bb.15:
	v_mov_b32_e32 v35, 0
	v_add_f32_e32 v8, v7, v6
	v_sub_f32_e32 v9, v6, v7
	v_lshlrev_b64 v[0:1], 3, v[34:35]
	v_add_co_u32 v0, s0, s1, v0
	v_add_co_ci_u32_e64 v1, s0, s4, v1, s0
	global_load_dwordx2 v[2:3], v[0:1], off
	ds_read_b32 v0, v4 offset:10884
	ds_read_b32 v1, v57 offset:4
	s_waitcnt lgkmcnt(0)
	v_add_f32_e32 v10, v0, v1
	v_sub_f32_e32 v0, v1, v0
	s_waitcnt vmcnt(0)
	v_fma_f32 v6, -v9, v3, v8
	v_fma_f32 v7, v10, v3, -v0
	v_fma_f32 v11, v9, v3, v8
	v_fma_f32 v1, v10, v3, v0
	v_fmac_f32_e32 v6, v2, v10
	v_fmac_f32_e32 v7, v9, v2
	v_fma_f32 v0, -v2, v10, v11
	v_fmac_f32_e32 v1, v9, v2
	v_mov_b32_e32 v2, v34
	v_mov_b32_e32 v3, v35
	ds_write_b64 v4, v[6:7] offset:10880
.LBB0_16:
	s_andn2_saveexec_b32 s0, s5
	s_cbranch_execz .LBB0_18
; %bb.17:
	ds_read_b64 v[2:3], v56 offset:5440
	s_waitcnt lgkmcnt(0)
	v_add_f32_e32 v6, v2, v2
	v_mul_f32_e32 v7, -2.0, v3
	v_mov_b32_e32 v2, 0
	v_mov_b32_e32 v3, 0
	ds_write_b64 v56, v[6:7] offset:5440
.LBB0_18:
	s_or_b32 exec_lo, exec_lo, s0
	v_lshlrev_b64 v[2:3], 3, v[2:3]
	v_add3_u32 v35, 0, v5, v58
	v_add_nc_u32_e32 v59, 0x2000, v35
	v_add_co_u32 v2, s0, s1, v2
	v_add_co_ci_u32_e64 v3, s0, s4, v3, s0
	v_add_nc_u32_e32 v60, 0x800, v35
	v_add_co_u32 v12, s0, 0x800, v2
	s_clause 0x2
	global_load_dwordx2 v[6:7], v[2:3], off offset:680
	global_load_dwordx2 v[8:9], v[2:3], off offset:1360
	;; [unrolled: 1-line block ×3, first 2 shown]
	v_add_co_ci_u32_e64 v13, s0, 0, v3, s0
	v_add_co_u32 v2, s0, 0x1000, v2
	s_clause 0x2
	global_load_dwordx2 v[14:15], v[12:13], off offset:672
	global_load_dwordx2 v[16:17], v[12:13], off offset:1352
	;; [unrolled: 1-line block ×3, first 2 shown]
	v_add_co_ci_u32_e64 v3, s0, 0, v3, s0
	ds_write_b64 v57, v[0:1]
	v_add_nc_u32_e32 v61, 0x1800, v35
	v_add_nc_u32_e32 v62, 0x1000, v35
	global_load_dwordx2 v[2:3], v[2:3], off offset:664
	ds_read_b64 v[0:1], v57 offset:680
	ds_read_b64 v[18:19], v4 offset:10200
	s_mov_b32 s1, exec_lo
	s_waitcnt lgkmcnt(0)
	v_add_f32_e32 v20, v0, v18
	v_add_f32_e32 v21, v19, v1
	v_sub_f32_e32 v22, v0, v18
	v_sub_f32_e32 v0, v1, v19
	s_waitcnt vmcnt(6)
	v_fma_f32 v23, v22, v7, v20
	v_fma_f32 v1, v21, v7, v0
	v_fma_f32 v18, -v22, v7, v20
	v_fma_f32 v19, v21, v7, -v0
	v_fma_f32 v0, -v6, v21, v23
	v_fmac_f32_e32 v1, v22, v6
	v_fmac_f32_e32 v18, v6, v21
	;; [unrolled: 1-line block ×3, first 2 shown]
	ds_write_b64 v57, v[0:1] offset:680
	ds_write_b64 v4, v[18:19] offset:10200
	ds_read_b64 v[0:1], v57 offset:1360
	ds_read_b64 v[6:7], v4 offset:9520
	s_waitcnt lgkmcnt(0)
	v_add_f32_e32 v18, v0, v6
	v_add_f32_e32 v19, v7, v1
	v_sub_f32_e32 v20, v0, v6
	v_sub_f32_e32 v0, v1, v7
	s_waitcnt vmcnt(5)
	v_fma_f32 v21, v20, v9, v18
	v_fma_f32 v1, v19, v9, v0
	v_fma_f32 v6, -v20, v9, v18
	v_fma_f32 v7, v19, v9, -v0
	v_fma_f32 v0, -v8, v19, v21
	v_fmac_f32_e32 v1, v20, v8
	v_fmac_f32_e32 v6, v8, v19
	v_fmac_f32_e32 v7, v20, v8
	ds_write_b64 v57, v[0:1] offset:1360
	ds_write_b64 v4, v[6:7] offset:9520
	ds_read_b64 v[0:1], v57 offset:2040
	ds_read_b64 v[6:7], v4 offset:8840
	v_add_nc_u32_e32 v20, 0x1400, v35
	s_waitcnt lgkmcnt(0)
	v_add_f32_e32 v8, v0, v6
	v_add_f32_e32 v9, v7, v1
	v_sub_f32_e32 v18, v0, v6
	v_sub_f32_e32 v0, v1, v7
	s_waitcnt vmcnt(4)
	v_fma_f32 v19, v18, v11, v8
	v_fma_f32 v1, v9, v11, v0
	v_fma_f32 v6, -v18, v11, v8
	v_fma_f32 v7, v9, v11, -v0
	v_fma_f32 v0, -v10, v9, v19
	v_fmac_f32_e32 v1, v18, v10
	v_fmac_f32_e32 v6, v10, v9
	v_fmac_f32_e32 v7, v18, v10
	ds_write_b64 v57, v[0:1] offset:2040
	ds_write_b64 v4, v[6:7] offset:8840
	ds_read_b64 v[0:1], v57 offset:2720
	ds_read_b64 v[6:7], v4 offset:8160
	s_waitcnt lgkmcnt(0)
	v_add_f32_e32 v8, v0, v6
	v_add_f32_e32 v9, v7, v1
	v_sub_f32_e32 v10, v0, v6
	v_sub_f32_e32 v0, v1, v7
	s_waitcnt vmcnt(3)
	v_fma_f32 v11, v10, v15, v8
	v_fma_f32 v1, v9, v15, v0
	v_fma_f32 v6, -v10, v15, v8
	v_fma_f32 v7, v9, v15, -v0
	v_fma_f32 v0, -v14, v9, v11
	v_fmac_f32_e32 v1, v10, v14
	v_fmac_f32_e32 v6, v14, v9
	v_fmac_f32_e32 v7, v10, v14
	ds_write_b64 v57, v[0:1] offset:2720
	ds_write_b64 v4, v[6:7] offset:8160
	ds_read_b64 v[0:1], v57 offset:3400
	ds_read_b64 v[6:7], v4 offset:7480
	;; [unrolled: 18-line block ×4, first 2 shown]
	s_waitcnt lgkmcnt(0)
	v_add_f32_e32 v8, v0, v6
	v_add_f32_e32 v9, v7, v1
	v_sub_f32_e32 v10, v0, v6
	v_sub_f32_e32 v0, v1, v7
	s_waitcnt vmcnt(0)
	v_fma_f32 v11, v10, v3, v8
	v_fma_f32 v1, v9, v3, v0
	v_fma_f32 v6, -v10, v3, v8
	v_fma_f32 v7, v9, v3, -v0
	v_fma_f32 v0, -v2, v9, v11
	v_fmac_f32_e32 v1, v10, v2
	v_fmac_f32_e32 v6, v2, v9
	;; [unrolled: 1-line block ×3, first 2 shown]
	v_add_nc_u32_e32 v2, 0x2400, v35
	ds_write_b64 v57, v[0:1] offset:4760
	ds_write_b64 v4, v[6:7] offset:6120
	s_waitcnt lgkmcnt(0)
	s_barrier
	buffer_gl0_inv
	s_barrier
	buffer_gl0_inv
	ds_read2_b64 v[12:15], v35 offset0:80 offset1:160
	ds_read2_b64 v[0:3], v2 offset0:48 offset1:128
	v_add_nc_u32_e32 v4, 0x400, v35
	ds_read2_b64 v[8:11], v4 offset0:112 offset1:192
	ds_read2_b64 v[4:7], v59 offset0:16 offset1:96
	;; [unrolled: 1-line block ×4, first 2 shown]
	ds_read_b64 v[42:43], v57
	ds_read2_b64 v[20:23], v20 offset0:80 offset1:160
	ds_read2_b64 v[24:27], v62 offset0:48 offset1:128
	s_waitcnt lgkmcnt(0)
	s_barrier
	buffer_gl0_inv
	v_add_f32_e32 v118, v3, v13
	v_sub_f32_e32 v53, v13, v3
	v_add_f32_e32 v95, v2, v12
	v_sub_f32_e32 v98, v12, v2
	;; [unrolled: 2-line block ×3, first 2 shown]
	v_mul_f32_e32 v77, 0xbeb8f4ab, v53
	v_mul_f32_e32 v78, 0x3f6eb680, v118
	;; [unrolled: 1-line block ×4, first 2 shown]
	v_add_f32_e32 v93, v0, v14
	v_sub_f32_e32 v97, v14, v0
	v_add_f32_e32 v115, v7, v9
	v_sub_f32_e32 v154, v9, v7
	v_mul_f32_e32 v75, 0xbf2c7751, v155
	v_mul_f32_e32 v76, 0x3f3d2fb0, v117
	;; [unrolled: 1-line block ×4, first 2 shown]
	v_fma_f32 v38, 0x3f6eb680, v95, -v77
	v_fmamk_f32 v39, v98, 0xbeb8f4ab, v78
	v_fma_f32 v123, 0x3f3d2fb0, v95, -v105
	v_fmamk_f32 v125, v98, 0xbf2c7751, v116
	v_add_f32_e32 v92, v6, v8
	v_sub_f32_e32 v96, v8, v6
	v_add_f32_e32 v113, v5, v11
	v_sub_f32_e32 v153, v11, v5
	v_mul_f32_e32 v72, 0xbf65296c, v154
	v_mul_f32_e32 v74, 0x3ee437d1, v115
	v_mul_f32_e32 v103, 0xbf4c4adb, v154
	v_mul_f32_e32 v112, 0xbf1a4643, v115
	v_fma_f32 v40, 0x3f3d2fb0, v93, -v75
	v_fmamk_f32 v41, v97, 0xbf2c7751, v76
	v_fma_f32 v124, 0x3dbcf732, v93, -v102
	v_fmamk_f32 v126, v97, 0xbf7ee86f, v114
	v_add_f32_e32 v38, v42, v38
	v_add_f32_e32 v39, v43, v39
	v_add_f32_e32 v123, v42, v123
	v_add_f32_e32 v125, v43, v125
	v_add_f32_e32 v89, v4, v10
	v_sub_f32_e32 v94, v10, v4
	v_sub_f32_e32 v152, v29, v19
	v_add_f32_e32 v109, v19, v29
	v_mul_f32_e32 v71, 0xbf7ee86f, v153
	v_mul_f32_e32 v73, 0x3dbcf732, v113
	v_mul_f32_e32 v101, 0xbe3c28d5, v153
	v_mul_f32_e32 v111, 0xbf7ba420, v113
	v_fma_f32 v44, 0x3ee437d1, v92, -v72
	v_fmamk_f32 v45, v96, 0xbf65296c, v74
	v_fma_f32 v127, 0xbf1a4643, v92, -v103
	v_fmamk_f32 v128, v96, 0xbf4c4adb, v112
	v_add_f32_e32 v38, v40, v38
	v_add_f32_e32 v39, v41, v39
	v_add_f32_e32 v40, v124, v123
	v_add_f32_e32 v41, v126, v125
	v_add_f32_e32 v84, v18, v28
	v_sub_f32_e32 v85, v28, v18
	v_sub_f32_e32 v55, v31, v17
	v_add_f32_e32 v107, v17, v31
	;; [unrolled: 16-line block ×4, first 2 shown]
	v_mul_f32_e32 v65, 0xbf06c442, v52
	v_mul_f32_e32 v67, 0xbf59a7d5, v110
	;; [unrolled: 1-line block ×4, first 2 shown]
	v_fma_f32 v50, 0xbf1a4643, v80, -v66
	v_fmamk_f32 v51, v83, 0xbf4c4adb, v68
	v_fma_f32 v133, 0xbe8c1d8e, v80, -v81
	v_fmamk_f32 v123, v83, 0x3f763a35, v104
	v_add_f32_e32 v38, v48, v38
	v_add_f32_e32 v39, v49, v39
	;; [unrolled: 1-line block ×5, first 2 shown]
	v_sub_f32_e32 v99, v26, v20
	v_mul_f32_e32 v63, 0xbe3c28d5, v54
	v_mul_f32_e32 v64, 0xbf7ba420, v108
	;; [unrolled: 1-line block ×4, first 2 shown]
	v_fma_f32 v119, 0xbf59a7d5, v86, -v65
	v_fmamk_f32 v120, v88, 0xbf06c442, v67
	v_fma_f32 v44, 0x3ee437d1, v86, -v82
	v_fmamk_f32 v45, v88, 0x3f65296c, v90
	v_add_f32_e32 v38, v50, v38
	v_add_f32_e32 v39, v51, v39
	;; [unrolled: 1-line block ×4, first 2 shown]
	v_fma_f32 v121, 0xbf7ba420, v87, -v63
	v_fmamk_f32 v122, v99, 0xbe3c28d5, v64
	v_fma_f32 v46, 0x3f6eb680, v87, -v79
	v_fmamk_f32 v47, v99, 0x3eb8f4ab, v91
	v_add_f32_e32 v38, v119, v38
	v_add_f32_e32 v39, v120, v39
	;; [unrolled: 1-line block ×8, first 2 shown]
	v_cmpx_gt_u32_e32 0x50, v34
	s_cbranch_execz .LBB0_20
; %bb.19:
	v_mul_f32_e32 v133, 0xbf65296c, v98
	v_mul_f32_e32 v131, 0xbf4c4adb, v97
	;; [unrolled: 1-line block ×5, first 2 shown]
	v_fmamk_f32 v44, v118, 0x3ee437d1, v133
	v_fmamk_f32 v46, v117, 0xbf1a4643, v131
	v_fma_f32 v45, 0x3ee437d1, v95, -v127
	v_mul_f32_e32 v135, 0x3f763a35, v94
	v_mul_f32_e32 v124, 0x3e3c28d5, v154
	v_add_f32_e32 v44, v43, v44
	v_fma_f32 v47, 0xbf1a4643, v93, -v126
	v_add_f32_e32 v45, v42, v45
	v_fmamk_f32 v48, v115, 0xbf7ba420, v130
	v_mul_f32_e32 v128, 0x3f2c7751, v85
	v_add_f32_e32 v44, v46, v44
	v_mul_f32_e32 v125, 0x3f763a35, v153
	v_fma_f32 v46, 0xbf7ba420, v92, -v124
	v_add_f32_e32 v45, v47, v45
	v_fmamk_f32 v47, v113, 0xbe8c1d8e, v135
	v_add_f32_e32 v44, v48, v44
	v_mul_f32_e32 v122, 0x3f2c7751, v152
	v_fma_f32 v48, 0xbe8c1d8e, v89, -v125
	v_add_f32_e32 v45, v46, v45
	v_fmamk_f32 v46, v109, 0x3f3d2fb0, v128
	v_add_f32_e32 v44, v47, v44
	v_mul_f32_e32 v134, 0xbeb8f4ab, v83
	v_fma_f32 v47, 0x3f3d2fb0, v84, -v122
	v_add_f32_e32 v45, v48, v45
	v_mul_f32_e32 v123, 0xbeb8f4ab, v55
	v_add_f32_e32 v44, v46, v44
	v_fmamk_f32 v46, v107, 0x3f6eb680, v134
	v_mul_f32_e32 v132, 0xbf7ee86f, v88
	v_add_f32_e32 v45, v47, v45
	v_fma_f32 v47, 0x3f6eb680, v80, -v123
	v_mul_f32_e32 v121, 0xbf7ee86f, v52
	v_add_f32_e32 v44, v46, v44
	v_fmamk_f32 v46, v110, 0x3dbcf732, v132
	v_mul_f32_e32 v129, 0xbf06c442, v99
	v_add_f32_e32 v45, v47, v45
	v_fma_f32 v47, 0x3dbcf732, v86, -v121
	v_mul_f32_e32 v150, 0xbf7ee86f, v98
	v_add_f32_e32 v44, v46, v44
	v_fmamk_f32 v46, v108, 0xbf59a7d5, v129
	v_mul_f32_e32 v151, 0xbe3c28d5, v97
	v_add_f32_e32 v47, v47, v45
	v_mul_f32_e32 v148, 0x3f763a35, v96
	v_mul_f32_e32 v145, 0xbf7ee86f, v53
	v_add_f32_e32 v45, v46, v44
	v_fmamk_f32 v44, v118, 0x3dbcf732, v150
	v_fmamk_f32 v49, v117, 0xbf7ba420, v151
	v_mul_f32_e32 v149, 0x3eb8f4ab, v94
	v_fma_f32 v48, 0x3dbcf732, v95, -v145
	v_mul_f32_e32 v144, 0xbe3c28d5, v155
	v_add_f32_e32 v44, v43, v44
	v_mul_f32_e32 v147, 0xbf65296c, v85
	v_mul_f32_e32 v119, 0xbf06c442, v54
	v_add_f32_e32 v48, v42, v48
	v_fma_f32 v50, 0xbf7ba420, v93, -v144
	v_add_f32_e32 v44, v49, v44
	v_fmamk_f32 v49, v115, 0xbe8c1d8e, v148
	v_mul_f32_e32 v143, 0x3f763a35, v154
	v_mul_f32_e32 v146, 0xbf06c442, v83
	v_fma_f32 v46, 0xbf59a7d5, v87, -v119
	v_add_f32_e32 v48, v50, v48
	v_add_f32_e32 v44, v49, v44
	v_fmamk_f32 v49, v113, 0x3f6eb680, v149
	v_fma_f32 v50, 0xbe8c1d8e, v92, -v143
	v_mul_f32_e32 v142, 0x3eb8f4ab, v153
	v_mul_f32_e32 v140, 0x3f4c4adb, v88
	;; [unrolled: 1-line block ×3, first 2 shown]
	v_add_f32_e32 v44, v49, v44
	v_fmamk_f32 v49, v109, 0x3ee437d1, v147
	v_add_f32_e32 v48, v50, v48
	v_fma_f32 v50, 0x3f6eb680, v89, -v142
	v_mul_f32_e32 v139, 0xbf65296c, v152
	v_fmamk_f32 v51, v110, 0xbf1a4643, v140
	v_add_f32_e32 v44, v49, v44
	v_fmamk_f32 v49, v107, 0xbf59a7d5, v146
	v_mul_f32_e32 v159, 0x3f06c442, v97
	v_mul_f32_e32 v160, 0xbf763a35, v53
	v_add_f32_e32 v48, v50, v48
	v_fma_f32 v50, 0x3ee437d1, v84, -v139
	v_add_f32_e32 v49, v49, v44
	v_add_f32_e32 v44, v46, v47
	v_fmamk_f32 v47, v118, 0xbe8c1d8e, v158
	v_mul_f32_e32 v138, 0xbf06c442, v55
	v_mul_f32_e32 v161, 0x3f2c7751, v96
	v_add_f32_e32 v46, v51, v49
	v_fmamk_f32 v49, v117, 0xbf59a7d5, v159
	v_add_f32_e32 v47, v43, v47
	v_fma_f32 v51, 0xbe8c1d8e, v95, -v160
	v_mul_f32_e32 v162, 0x3f06c442, v155
	v_add_f32_e32 v48, v50, v48
	v_fma_f32 v50, 0xbf59a7d5, v80, -v138
	v_mul_f32_e32 v137, 0x3f4c4adb, v52
	v_add_f32_e32 v47, v49, v47
	v_fmamk_f32 v49, v115, 0x3f3d2fb0, v161
	v_mul_f32_e32 v163, 0xbf65296c, v94
	v_add_f32_e32 v51, v42, v51
	v_fma_f32 v120, 0xbf59a7d5, v93, -v162
	v_mul_f32_e32 v164, 0x3f2c7751, v154
	v_add_f32_e32 v48, v50, v48
	v_fma_f32 v50, 0xbf1a4643, v86, -v137
	v_mul_f32_e32 v141, 0x3f2c7751, v99
	v_add_f32_e32 v47, v49, v47
	v_fmamk_f32 v49, v113, 0x3ee437d1, v163
	v_mul_f32_e32 v165, 0xbe3c28d5, v85
	v_add_f32_e32 v51, v120, v51
	v_fma_f32 v120, 0x3f3d2fb0, v92, -v164
	v_mul_f32_e32 v166, 0xbf65296c, v153
	v_add_f32_e32 v48, v50, v48
	v_fmamk_f32 v50, v108, 0x3f3d2fb0, v141
	v_add_f32_e32 v49, v49, v47
	v_fmamk_f32 v136, v109, 0xbf7ba420, v165
	v_mul_f32_e32 v167, 0x3f7ee86f, v83
	v_add_f32_e32 v51, v120, v51
	v_fma_f32 v120, 0x3ee437d1, v89, -v166
	v_mul_f32_e32 v168, 0xbe3c28d5, v152
	v_add_f32_e32 v47, v50, v46
	v_add_f32_e32 v46, v136, v49
	v_fmamk_f32 v49, v107, 0x3dbcf732, v167
	v_add_f32_e32 v50, v120, v51
	v_fma_f32 v51, 0xbf7ba420, v84, -v168
	v_mul_f32_e32 v169, 0x3f7ee86f, v55
	v_mul_f32_e32 v170, 0xbeb8f4ab, v88
	;; [unrolled: 1-line block ×3, first 2 shown]
	v_add_f32_e32 v46, v49, v46
	v_add_f32_e32 v49, v51, v50
	v_fma_f32 v50, 0x3dbcf732, v80, -v169
	v_mul_f32_e32 v171, 0xbeb8f4ab, v52
	v_fmamk_f32 v51, v110, 0x3f6eb680, v170
	v_mul_f32_e32 v172, 0xbf4c4adb, v99
	v_fma_f32 v136, 0x3f3d2fb0, v87, -v120
	v_add_f32_e32 v49, v50, v49
	v_fma_f32 v50, 0x3f6eb680, v86, -v171
	v_add_f32_e32 v51, v51, v46
	v_fmamk_f32 v156, v108, 0xbf1a4643, v172
	v_mul_f32_e32 v173, 0xbf4c4adb, v98
	v_mul_f32_e32 v174, 0xbf4c4adb, v53
	v_add_f32_e32 v46, v136, v48
	v_add_f32_e32 v48, v50, v49
	;; [unrolled: 1-line block ×3, first 2 shown]
	v_fmamk_f32 v50, v118, 0xbf1a4643, v173
	v_mul_f32_e32 v175, 0x3f763a35, v97
	v_fma_f32 v51, 0xbf1a4643, v95, -v174
	v_mul_f32_e32 v177, 0x3f763a35, v155
	v_mul_f32_e32 v178, 0xbeb8f4ab, v96
	v_add_f32_e32 v50, v43, v50
	v_fmamk_f32 v136, v117, 0xbe8c1d8e, v175
	v_add_f32_e32 v51, v42, v51
	v_fma_f32 v156, 0xbe8c1d8e, v93, -v177
	v_mul_f32_e32 v179, 0xbeb8f4ab, v154
	v_mul_f32_e32 v180, 0xbf06c442, v94
	v_add_f32_e32 v50, v136, v50
	v_fmamk_f32 v136, v115, 0x3f6eb680, v178
	v_add_f32_e32 v51, v156, v51
	;; [unrolled: 6-line block ×4, first 2 shown]
	v_fma_f32 v156, 0x3dbcf732, v84, -v183
	v_mul_f32_e32 v185, 0xbf2c7751, v55
	v_mul_f32_e32 v176, 0xbf4c4adb, v54
	v_add_f32_e32 v50, v136, v50
	v_fmamk_f32 v136, v107, 0x3f3d2fb0, v184
	v_mul_f32_e32 v186, 0xbe3c28d5, v88
	v_add_f32_e32 v51, v156, v51
	v_fma_f32 v156, 0x3f3d2fb0, v80, -v185
	v_mul_f32_e32 v157, 0xbe3c28d5, v52
	v_fma_f32 v187, 0xbf1a4643, v87, -v176
	v_add_f32_e32 v50, v136, v50
	v_fmamk_f32 v188, v110, 0xbf7ba420, v186
	v_add_f32_e32 v51, v156, v51
	v_mul_f32_e32 v156, 0x3f65296c, v99
	v_fma_f32 v189, 0xbf7ba420, v86, -v157
	v_mul_f32_e32 v136, 0x3f65296c, v54
	v_add_f32_e32 v48, v187, v48
	v_add_f32_e32 v50, v188, v50
	v_fmamk_f32 v187, v108, 0x3ee437d1, v156
	v_mul_f32_e32 v188, 0xbf06c442, v98
	v_add_f32_e32 v189, v189, v51
	v_fma_f32 v190, 0x3ee437d1, v87, -v136
	v_mul_f32_e32 v191, 0xbf06c442, v53
	v_add_f32_e32 v51, v187, v50
	v_fmamk_f32 v187, v118, 0xbf59a7d5, v188
	v_mul_f32_e32 v192, 0x3f65296c, v97
	v_add_f32_e32 v50, v190, v189
	v_fma_f32 v189, 0xbf59a7d5, v95, -v191
	v_mul_f32_e32 v190, 0x3f65296c, v155
	;; [unrolled: 6-line block ×8, first 2 shown]
	v_add_f32_e32 v187, v193, v187
	v_fmamk_f32 v193, v118, 0xbf7ba420, v205
	v_mul_f32_e32 v207, 0x3eb8f4ab, v97
	v_add_f32_e32 v189, v195, v189
	v_fmamk_f32 v195, v108, 0xbe8c1d8e, v206
	v_mul_f32_e32 v208, 0xbe3c28d5, v53
	;; [unrolled: 3-line block ×3, first 2 shown]
	v_add_f32_e32 v53, v195, v187
	v_fma_f32 v187, 0xbf7ba420, v95, -v208
	v_mul_f32_e32 v155, 0x3eb8f4ab, v155
	v_add_f32_e32 v193, v209, v193
	v_fmamk_f32 v195, v115, 0xbf59a7d5, v210
	v_mul_f32_e32 v209, 0x3f2c7751, v94
	v_add_f32_e32 v187, v42, v187
	v_fma_f32 v211, 0x3f6eb680, v93, -v155
	v_mul_f32_e32 v212, 0xbf06c442, v154
	v_add_f32_e32 v154, v195, v193
	v_fmamk_f32 v193, v113, 0x3f3d2fb0, v209
	v_mul_f32_e32 v195, 0xbf4c4adb, v85
	;; [unrolled: 6-line block ×3, first 2 shown]
	v_add_f32_e32 v187, v211, v187
	v_fma_f32 v211, 0x3f3d2fb0, v89, -v213
	v_mul_f32_e32 v153, 0xbf763a35, v54
	v_mul_f32_e32 v215, 0x3f65296c, v83
	v_add_f32_e32 v154, v193, v154
	v_fma_f32 v193, 0xbf1a4643, v84, -v214
	v_add_f32_e32 v187, v211, v187
	v_mul_f32_e32 v211, 0x3f65296c, v55
	v_fma_f32 v188, 0xbf59a7d5, v118, -v188
	v_fma_f32 v152, 0xbe8c1d8e, v87, -v153
	v_fmamk_f32 v55, v107, 0x3ee437d1, v215
	v_mul_f32_e32 v216, 0xbf763a35, v88
	v_add_f32_e32 v187, v193, v187
	v_fma_f32 v193, 0x3ee437d1, v80, -v211
	v_mul_f32_e32 v217, 0xbf763a35, v52
	v_add_f32_e32 v52, v43, v188
	v_fma_f32 v188, 0x3ee437d1, v117, -v192
	v_fmac_f32_e32 v191, 0xbf59a7d5, v95
	v_add_f32_e32 v55, v55, v154
	v_fmamk_f32 v154, v110, 0xbe8c1d8e, v216
	v_add_f32_e32 v187, v193, v187
	v_fma_f32 v192, 0xbe8c1d8e, v86, -v217
	v_add_f32_e32 v188, v188, v52
	v_add_f32_e32 v52, v152, v189
	v_mul_f32_e32 v152, 0x3f7ee86f, v54
	v_add_f32_e32 v54, v42, v191
	v_fmac_f32_e32 v190, 0x3ee437d1, v93
	v_fma_f32 v158, 0xbe8c1d8e, v118, -v158
	v_fmac_f32_e32 v160, 0xbe8c1d8e, v95
	v_fma_f32 v193, 0x3dbcf732, v115, -v194
	v_add_f32_e32 v55, v154, v55
	v_add_f32_e32 v154, v192, v187
	v_fma_f32 v192, 0x3dbcf732, v87, -v152
	v_add_f32_e32 v190, v190, v54
	v_fmac_f32_e32 v196, 0x3dbcf732, v92
	v_add_f32_e32 v158, v43, v158
	v_fma_f32 v159, 0xbf59a7d5, v117, -v159
	v_add_f32_e32 v160, v42, v160
	v_fmac_f32_e32 v162, 0xbf59a7d5, v93
	v_add_f32_e32 v187, v193, v188
	v_fma_f32 v188, 0xbf1a4643, v113, -v197
	v_add_f32_e32 v54, v192, v154
	v_add_f32_e32 v154, v196, v190
	v_fmac_f32_e32 v198, 0xbf1a4643, v89
	v_add_f32_e32 v158, v159, v158
	v_fma_f32 v159, 0x3f3d2fb0, v115, -v161
	v_add_f32_e32 v160, v162, v160
	v_fmac_f32_e32 v164, 0x3f3d2fb0, v92
	v_add_f32_e32 v187, v188, v187
	v_fma_f32 v188, 0x3f6eb680, v109, -v199
	;; [unrolled: 4-line block ×3, first 2 shown]
	v_add_f32_e32 v160, v164, v160
	v_fmac_f32_e32 v166, 0x3ee437d1, v89
	v_fma_f32 v162, 0xbf7ba420, v118, -v205
	v_add_f32_e32 v187, v188, v187
	v_fma_f32 v188, 0xbf7ba420, v107, -v201
	v_add_f32_e32 v154, v200, v154
	v_fmac_f32_e32 v202, 0xbf7ba420, v80
	v_add_f32_e32 v158, v159, v158
	v_fma_f32 v159, 0xbf7ba420, v109, -v165
	v_add_f32_e32 v160, v166, v160
	v_fmac_f32_e32 v168, 0xbf7ba420, v84
	v_add_f32_e32 v162, v43, v162
	v_fma_f32 v163, 0x3f6eb680, v117, -v207
	v_add_f32_e32 v187, v188, v187
	v_fma_f32 v188, 0x3f3d2fb0, v110, -v203
	v_add_f32_e32 v154, v202, v154
	v_fmac_f32_e32 v204, 0x3f3d2fb0, v86
	v_add_f32_e32 v158, v159, v158
	v_fma_f32 v159, 0x3dbcf732, v107, -v167
	v_add_f32_e32 v160, v168, v160
	v_fmac_f32_e32 v169, 0x3dbcf732, v80
	v_add_f32_e32 v162, v163, v162
	v_fma_f32 v163, 0xbf59a7d5, v115, -v210
	v_add_f32_e32 v161, v188, v187
	v_add_f32_e32 v164, v204, v154
	;; [unrolled: 1-line block ×3, first 2 shown]
	v_fma_f32 v154, 0xbe8c1d8e, v108, -v206
	v_add_f32_e32 v159, v169, v160
	v_add_f32_e32 v160, v163, v162
	v_fma_f32 v162, 0x3f3d2fb0, v113, -v209
	v_fmac_f32_e32 v171, 0x3f6eb680, v86
	v_add_f32_e32 v154, v154, v161
	v_fma_f32 v161, 0x3f6eb680, v110, -v170
	v_fmac_f32_e32 v176, 0xbf1a4643, v87
	v_add_f32_e32 v160, v162, v160
	v_fma_f32 v162, 0xbf1a4643, v109, -v195
	v_fma_f32 v150, 0x3dbcf732, v118, -v150
	v_add_f32_e32 v158, v161, v158
	v_add_f32_e32 v161, v171, v159
	v_fma_f32 v159, 0xbf1a4643, v108, -v172
	v_add_f32_e32 v160, v162, v160
	v_fma_f32 v162, 0x3ee437d1, v107, -v215
	v_fmac_f32_e32 v145, 0x3dbcf732, v95
	v_add_f32_e32 v150, v43, v150
	v_add_f32_e32 v159, v159, v158
	;; [unrolled: 1-line block ×4, first 2 shown]
	v_fma_f32 v162, 0xbe8c1d8e, v110, -v216
	v_fma_f32 v161, 0xbf1a4643, v118, -v173
	;; [unrolled: 1-line block ×4, first 2 shown]
	v_add_f32_e32 v133, v42, v145
	v_fmac_f32_e32 v144, 0xbf7ba420, v93
	v_add_f32_e32 v160, v162, v160
	v_add_f32_e32 v161, v43, v161
	v_fma_f32 v162, 0xbe8c1d8e, v117, -v175
	v_add_f32_e32 v150, v151, v150
	v_fma_f32 v148, 0xbe8c1d8e, v115, -v148
	v_fma_f32 v117, 0xbf1a4643, v117, -v131
	v_add_f32_e32 v118, v43, v118
	v_add_f32_e32 v131, v144, v133
	v_fmac_f32_e32 v143, 0xbe8c1d8e, v92
	v_add_f32_e32 v161, v162, v161
	v_fma_f32 v162, 0x3f6eb680, v115, -v178
	v_add_f32_e32 v145, v148, v150
	v_fma_f32 v148, 0x3f6eb680, v113, -v149
	;; [unrolled: 2-line block ×3, first 2 shown]
	v_add_f32_e32 v118, v143, v131
	v_fmac_f32_e32 v142, 0x3f6eb680, v89
	v_add_f32_e32 v161, v162, v161
	v_fma_f32 v162, 0xbf59a7d5, v113, -v180
	v_add_f32_e32 v133, v148, v145
	v_fma_f32 v144, 0x3ee437d1, v109, -v147
	;; [unrolled: 2-line block ×3, first 2 shown]
	v_add_f32_e32 v117, v142, v118
	v_fmac_f32_e32 v139, 0x3ee437d1, v84
	v_fmac_f32_e32 v127, 0x3ee437d1, v95
	v_add_f32_e32 v161, v162, v161
	v_fma_f32 v162, 0x3dbcf732, v109, -v182
	v_add_f32_e32 v130, v144, v133
	v_fma_f32 v131, 0xbf59a7d5, v107, -v146
	;; [unrolled: 2-line block ×3, first 2 shown]
	v_add_f32_e32 v115, v139, v117
	v_add_f32_e32 v117, v42, v127
	v_fmac_f32_e32 v126, 0xbf1a4643, v93
	v_add_f32_e32 v161, v162, v161
	v_fma_f32 v162, 0x3f3d2fb0, v107, -v184
	v_add_f32_e32 v118, v131, v130
	v_add_f32_e32 v109, v109, v113
	v_fma_f32 v107, 0x3f6eb680, v107, -v134
	v_fma_f32 v113, 0xbf1a4643, v110, -v140
	v_add_f32_e32 v117, v126, v117
	v_fmac_f32_e32 v124, 0xbf7ba420, v92
	v_add_f32_e32 v161, v162, v161
	v_fma_f32 v162, 0xbf7ba420, v110, -v186
	v_add_f32_e32 v107, v107, v109
	v_fma_f32 v109, 0x3dbcf732, v110, -v132
	v_add_f32_e32 v110, v113, v118
	v_add_f32_e32 v113, v124, v117
	v_fmac_f32_e32 v125, 0xbe8c1d8e, v89
	v_mul_f32_e32 v118, 0xbf2c7751, v98
	v_fmac_f32_e32 v122, 0x3f3d2fb0, v84
	v_fmac_f32_e32 v123, 0x3f6eb680, v80
	;; [unrolled: 1-line block ×3, first 2 shown]
	v_add_f32_e32 v113, v125, v113
	v_mul_f32_e32 v125, 0xbf7ee86f, v97
	v_sub_f32_e32 v116, v116, v118
	v_fmac_f32_e32 v174, 0xbf1a4643, v95
	v_mul_f32_e32 v118, 0x3f6eb680, v95
	v_add_f32_e32 v113, v122, v113
	v_sub_f32_e32 v114, v114, v125
	v_add_f32_e32 v116, v43, v116
	v_mul_f32_e32 v95, 0x3f3d2fb0, v95
	v_mul_f32_e32 v122, 0xbf4c4adb, v96
	v_add_f32_e32 v113, v123, v113
	v_fmac_f32_e32 v121, 0x3dbcf732, v86
	v_fmac_f32_e32 v155, 0x3f6eb680, v93
	;; [unrolled: 1-line block ×3, first 2 shown]
	v_add_f32_e32 v114, v114, v116
	v_mul_f32_e32 v116, 0x3f3d2fb0, v93
	v_mul_f32_e32 v93, 0x3dbcf732, v93
	v_sub_f32_e32 v112, v112, v122
	v_add_f32_e32 v113, v121, v113
	v_mul_f32_e32 v121, 0xbe3c28d5, v94
	v_add_f32_e32 v95, v95, v105
	v_add_f32_e32 v13, v43, v13
	;; [unrolled: 1-line block ×3, first 2 shown]
	v_fmac_f32_e32 v212, 0xbf59a7d5, v92
	v_fmac_f32_e32 v179, 0x3f6eb680, v92
	v_mul_f32_e32 v122, 0x3ee437d1, v92
	v_mul_f32_e32 v92, 0xbf1a4643, v92
	v_add_f32_e32 v112, v112, v114
	v_sub_f32_e32 v111, v111, v121
	v_add_f32_e32 v93, v93, v102
	v_add_f32_e32 v95, v42, v95
	;; [unrolled: 1-line block ×4, first 2 shown]
	v_fmac_f32_e32 v213, 0x3f3d2fb0, v89
	v_fmac_f32_e32 v211, 0x3ee437d1, v80
	;; [unrolled: 1-line block ×5, first 2 shown]
	v_mul_f32_e32 v114, 0x3dbcf732, v89
	v_mul_f32_e32 v89, 0xbf7ba420, v89
	;; [unrolled: 1-line block ×3, first 2 shown]
	v_add_f32_e32 v111, v111, v112
	v_mul_f32_e32 v112, 0xbf4c4adb, v83
	v_mul_f32_e32 v123, 0xbe8c1d8e, v80
	;; [unrolled: 1-line block ×3, first 2 shown]
	v_add_f32_e32 v80, v93, v95
	v_add_f32_e32 v83, v92, v103
	;; [unrolled: 1-line block ×4, first 2 shown]
	v_fmac_f32_e32 v214, 0xbf1a4643, v84
	v_fmac_f32_e32 v183, 0x3dbcf732, v84
	v_mul_f32_e32 v121, 0xbe8c1d8e, v84
	v_mul_f32_e32 v105, 0xbf763a35, v85
	;; [unrolled: 1-line block ×4, first 2 shown]
	v_add_f32_e32 v126, v83, v80
	v_add_f32_e32 v89, v89, v101
	v_add_f32_e32 v9, v9, v11
	v_add_f32_e32 v10, v8, v10
	v_sub_f32_e32 v103, v106, v85
	v_add_f32_e32 v84, v84, v100
	v_add_f32_e32 v89, v89, v126
	;; [unrolled: 1-line block ×4, first 2 shown]
	v_fmac_f32_e32 v153, 0xbe8c1d8e, v87
	v_fmac_f32_e32 v217, 0xbe8c1d8e, v86
	;; [unrolled: 1-line block ×4, first 2 shown]
	v_mul_f32_e32 v93, 0xbf59a7d5, v86
	v_mul_f32_e32 v86, 0x3ee437d1, v86
	;; [unrolled: 1-line block ×5, first 2 shown]
	v_fmac_f32_e32 v152, 0x3dbcf732, v87
	v_fmac_f32_e32 v136, 0x3ee437d1, v87
	;; [unrolled: 1-line block ×4, first 2 shown]
	v_add_f32_e32 v87, v103, v111
	v_sub_f32_e32 v103, v104, v125
	v_add_f32_e32 v84, v84, v89
	v_add_f32_e32 v14, v123, v81
	;; [unrolled: 1-line block ×4, first 2 shown]
	v_mul_f32_e32 v189, 0x3f7ee86f, v99
	v_mul_f32_e32 v98, 0xbeb8f4ab, v98
	;; [unrolled: 1-line block ×4, first 2 shown]
	v_add_f32_e32 v87, v103, v87
	v_sub_f32_e32 v90, v90, v95
	v_add_f32_e32 v12, v14, v84
	v_add_f32_e32 v13, v86, v82
	;; [unrolled: 1-line block ×4, first 2 shown]
	v_mul_f32_e32 v97, 0xbf2c7751, v97
	v_add_f32_e32 v15, v90, v87
	v_sub_f32_e32 v81, v91, v99
	v_add_f32_e32 v11, v13, v12
	v_sub_f32_e32 v12, v78, v98
	v_add_f32_e32 v14, v118, v77
	v_add_f32_e32 v9, v9, v27
	;; [unrolled: 1-line block ×4, first 2 shown]
	v_mul_f32_e32 v96, 0xbf65296c, v96
	v_add_f32_e32 v8, v81, v15
	v_add_f32_e32 v12, v43, v12
	v_sub_f32_e32 v15, v76, v97
	v_add_f32_e32 v14, v42, v14
	v_add_f32_e32 v28, v116, v75
	;; [unrolled: 1-line block ×6, first 2 shown]
	v_mul_f32_e32 v94, 0xbf7ee86f, v94
	v_add_f32_e32 v12, v15, v12
	v_sub_f32_e32 v15, v74, v96
	v_add_f32_e32 v14, v28, v14
	v_add_f32_e32 v24, v122, v72
	;; [unrolled: 1-line block ×6, first 2 shown]
	v_sub_f32_e32 v15, v73, v94
	v_add_f32_e32 v14, v24, v14
	v_add_f32_e32 v20, v114, v71
	v_add_f32_e32 v9, v9, v17
	v_add_f32_e32 v10, v10, v16
	v_add_f32_e32 v163, v179, v163
	v_add_f32_e32 v155, v212, v155
	v_add_f32_e32 v12, v15, v12
	v_sub_f32_e32 v15, v70, v105
	v_add_f32_e32 v14, v20, v14
	v_add_f32_e32 v20, v121, v69
	;; [unrolled: 1-line block ×6, first 2 shown]
	v_mul_f32_e32 v92, 0xbf06c442, v88
	v_add_f32_e32 v12, v15, v12
	v_sub_f32_e32 v15, v68, v112
	v_add_f32_e32 v14, v20, v14
	v_add_f32_e32 v16, v102, v66
	;; [unrolled: 1-line block ×7, first 2 shown]
	v_sub_f32_e32 v15, v67, v92
	v_add_f32_e32 v9, v16, v14
	v_add_f32_e32 v10, v93, v65
	;; [unrolled: 1-line block ×8, first 2 shown]
	v_sub_f32_e32 v6, v64, v127
	v_add_f32_e32 v7, v10, v9
	v_add_f32_e32 v9, v106, v63
	;; [unrolled: 1-line block ×4, first 2 shown]
	v_mul_u32_u24_e32 v10, 0x88, v34
	v_fmamk_f32 v191, v108, 0x3dbcf732, v189
	v_add_f32_e32 v107, v109, v107
	v_fma_f32 v109, 0x3dbcf732, v108, -v189
	v_fma_f32 v117, 0x3ee437d1, v108, -v156
	;; [unrolled: 1-line block ×4, first 2 shown]
	v_add_f32_e32 v13, v101, v79
	v_add_f32_e32 v115, v137, v115
	v_add_f32_e32 v161, v162, v161
	v_add_f32_e32 v151, v157, v163
	v_add_f32_e32 v155, v217, v155
	v_add_f32_e32 v1, v6, v12
	v_add_f32_e32 v0, v9, v7
	v_add_f32_e32 v3, v5, v3
	v_add_f32_e32 v2, v4, v2
	v_add3_u32 v4, 0, v10, v58
	v_add_f32_e32 v88, v108, v107
	v_add_f32_e32 v87, v119, v113
	;; [unrolled: 1-line block ×11, first 2 shown]
	ds_write2_b64 v4, v[2:3], v[0:1] offset1:1
	ds_write2_b64 v4, v[7:8], v[87:88] offset0:2 offset1:3
	ds_write2_b64 v4, v[84:85], v[158:159] offset0:4 offset1:5
	;; [unrolled: 1-line block ×7, first 2 shown]
	ds_write_b64 v4, v[40:41] offset:128
.LBB0_20:
	s_or_b32 exec_lo, exec_lo, s1
	v_add_nc_u32_e32 v0, 0xc00, v35
	v_add_nc_u32_e32 v1, 0x1c00, v35
	s_waitcnt lgkmcnt(0)
	s_barrier
	buffer_gl0_inv
	ds_read_b64 v[44:45], v57
	ds_read2_b64 v[24:27], v60 offset0:16 offset1:101
	ds_read2_b64 v[8:11], v0 offset0:58 offset1:160
	;; [unrolled: 1-line block ×7, first 2 shown]
	v_cmp_gt_u32_e64 s0, 17, v34
                                        ; implicit-def: $vgpr29
                                        ; implicit-def: $vgpr43
                                        ; implicit-def: $vgpr31
	s_and_saveexec_b32 s1, s0
	s_cbranch_execz .LBB0_22
; %bb.21:
	ds_read_b64 v[38:39], v35 offset:2040
	ds_read_b64 v[40:41], v35 offset:4216
	;; [unrolled: 1-line block ×5, first 2 shown]
.LBB0_22:
	s_or_b32 exec_lo, exec_lo, s1
	v_and_b32_e32 v46, 0xff, v34
	v_add_nc_u16 v59, v34, 0x55
	v_add_nc_u16 v60, v34, 0xaa
	v_mul_lo_u16 v46, 0xf1, v46
	v_and_b32_e32 v49, 0xff, v59
	v_lshrrev_b16 v47, 12, v46
	v_mov_b32_e32 v46, 5
	v_mul_lo_u16 v48, v47, 17
	v_and_b32_e32 v80, 0xffff, v47
	v_mov_b32_e32 v47, 3
	v_sub_nc_u16 v75, v34, v48
	v_mul_lo_u16 v48, 0xf1, v49
	v_and_b32_e32 v49, 0xff, v60
	v_mad_u32_u24 v80, 0x2a8, v80, 0
	v_lshlrev_b32_sdwa v52, v46, v75 dst_sel:DWORD dst_unused:UNUSED_PAD src0_sel:DWORD src1_sel:BYTE_0
	v_lshrrev_b16 v76, 12, v48
	v_mul_lo_u16 v61, 0xf1, v49
	v_lshlrev_b32_sdwa v75, v47, v75 dst_sel:DWORD dst_unused:UNUSED_PAD src0_sel:DWORD src1_sel:BYTE_0
	global_load_dwordx4 v[48:51], v52, s[12:13]
	v_mul_lo_u16 v62, v76, 17
	v_lshrrev_b16 v77, 12, v61
	v_and_b32_e32 v76, 0xffff, v76
	v_add3_u32 v75, v80, v75, v58
	v_sub_nc_u16 v78, v59, v62
	v_mul_lo_u16 v59, v77, 17
	v_and_b32_e32 v77, 0xffff, v77
	v_mad_u32_u24 v76, 0x2a8, v76, 0
	v_lshlrev_b32_sdwa v63, v46, v78 dst_sel:DWORD dst_unused:UNUSED_PAD src0_sel:DWORD src1_sel:BYTE_0
	v_sub_nc_u16 v79, v60, v59
	v_mad_u32_u24 v77, 0x2a8, v77, 0
	v_lshlrev_b32_sdwa v78, v47, v78 dst_sel:DWORD dst_unused:UNUSED_PAD src0_sel:DWORD src1_sel:BYTE_0
	s_clause 0x1
	global_load_dwordx4 v[59:62], v63, s[12:13]
	global_load_dwordx4 v[52:55], v52, s[12:13] offset:16
	v_lshlrev_b32_sdwa v71, v46, v79 dst_sel:DWORD dst_unused:UNUSED_PAD src0_sel:DWORD src1_sel:BYTE_0
	s_clause 0x2
	global_load_dwordx4 v[63:66], v63, s[12:13] offset:16
	global_load_dwordx4 v[67:70], v71, s[12:13]
	global_load_dwordx4 v[71:74], v71, s[12:13] offset:16
	v_lshlrev_b32_sdwa v79, v47, v79 dst_sel:DWORD dst_unused:UNUSED_PAD src0_sel:DWORD src1_sel:BYTE_0
	v_add3_u32 v76, v76, v78, v58
	s_waitcnt vmcnt(0) lgkmcnt(0)
	s_barrier
	buffer_gl0_inv
	v_add3_u32 v77, v77, v79, v58
	v_mul_f32_e32 v78, v49, v25
	v_mul_f32_e32 v49, v49, v24
	;; [unrolled: 1-line block ×4, first 2 shown]
	v_fmac_f32_e32 v78, v48, v24
	v_fma_f32 v24, v48, v25, -v49
	v_fmac_f32_e32 v79, v50, v10
	v_fma_f32 v10, v50, v11, -v51
	v_mul_f32_e32 v80, v53, v13
	v_mul_f32_e32 v53, v53, v12
	;; [unrolled: 1-line block ×5, first 2 shown]
	v_fmac_f32_e32 v80, v52, v12
	v_fma_f32 v11, v52, v13, -v53
	v_fmac_f32_e32 v81, v54, v6
	v_fma_f32 v25, v54, v7, -v55
	v_mul_f32_e32 v6, v60, v27
	v_mul_f32_e32 v7, v60, v26
	;; [unrolled: 1-line block ×15, first 2 shown]
	v_fmac_f32_e32 v6, v59, v26
	v_fma_f32 v7, v59, v27, -v7
	v_fmac_f32_e32 v12, v61, v20
	v_fma_f32 v13, v61, v21, -v13
	;; [unrolled: 2-line block ×3, first 2 shown]
	v_fma_f32 v26, v17, v65, -v51
	v_fmac_f32_e32 v52, v8, v67
	v_fma_f32 v8, v9, v67, -v53
	v_fma_f32 v14, v23, v69, -v55
	v_fmac_f32_e32 v60, v4, v71
	v_fma_f32 v21, v5, v71, -v62
	v_fmac_f32_e32 v64, v18, v73
	v_add_f32_e32 v4, v44, v78
	v_add_f32_e32 v5, v79, v80
	v_sub_f32_e32 v15, v24, v25
	v_sub_f32_e32 v9, v78, v79
	;; [unrolled: 1-line block ×3, first 2 shown]
	v_add_f32_e32 v18, v78, v81
	v_add_f32_e32 v23, v45, v24
	v_sub_f32_e32 v55, v24, v10
	v_add_f32_e32 v61, v24, v25
	v_sub_f32_e32 v24, v10, v24
	v_sub_f32_e32 v62, v11, v25
	v_fmac_f32_e32 v50, v16, v65
	v_fmac_f32_e32 v54, v22, v69
	v_fma_f32 v27, v19, v73, -v66
	v_sub_f32_e32 v19, v79, v78
	v_sub_f32_e32 v22, v80, v81
	v_add_f32_e32 v49, v10, v11
	v_sub_f32_e32 v16, v10, v11
	v_sub_f32_e32 v59, v25, v11
	v_add_f32_e32 v63, v4, v79
	v_fma_f32 v4, -0.5, v5, v44
	v_add_f32_e32 v65, v9, v17
	v_fma_f32 v44, -0.5, v18, v44
	v_add_f32_e32 v9, v23, v10
	v_add_f32_e32 v24, v24, v62
	;; [unrolled: 1-line block ×9, first 2 shown]
	v_sub_f32_e32 v51, v78, v81
	v_sub_f32_e32 v53, v79, v80
	v_fma_f32 v5, -0.5, v49, v45
	v_fmac_f32_e32 v45, -0.5, v61
	v_sub_f32_e32 v23, v12, v6
	v_sub_f32_e32 v61, v48, v50
	v_add_f32_e32 v78, v2, v52
	v_add_f32_e32 v79, v54, v60
	;; [unrolled: 1-line block ×7, first 2 shown]
	v_sub_f32_e32 v55, v7, v26
	v_sub_f32_e32 v18, v6, v12
	;; [unrolled: 1-line block ×6, first 2 shown]
	v_add_f32_e32 v63, v63, v80
	v_fmamk_f32 v6, v15, 0xbf737871, v4
	v_fmac_f32_e32 v4, 0x3f737871, v15
	v_fmamk_f32 v8, v16, 0x3f737871, v44
	v_fmac_f32_e32 v44, 0xbf737871, v16
	v_add_f32_e32 v80, v9, v11
	v_add_f32_e32 v97, v10, v12
	v_fma_f32 v10, -0.5, v17, v0
	v_add_f32_e32 v17, v62, v13
	v_fma_f32 v11, -0.5, v67, v1
	v_sub_f32_e32 v59, v13, v20
	v_sub_f32_e32 v19, v50, v48
	;; [unrolled: 1-line block ×3, first 2 shown]
	v_fma_f32 v0, -0.5, v22, v0
	v_fma_f32 v1, -0.5, v72, v1
	v_sub_f32_e32 v70, v7, v13
	v_sub_f32_e32 v73, v13, v7
	;; [unrolled: 1-line block ×7, first 2 shown]
	v_fmamk_f32 v7, v51, 0x3f737871, v5
	v_fmac_f32_e32 v5, 0xbf737871, v51
	v_fmamk_f32 v9, v53, 0xbf737871, v45
	v_fmac_f32_e32 v45, 0x3f737871, v53
	v_add_f32_e32 v61, v23, v61
	v_add_f32_e32 v22, v78, v54
	v_fma_f32 v12, -0.5, v79, v2
	v_fma_f32 v2, -0.5, v86, v2
	v_add_f32_e32 v23, v89, v14
	v_fma_f32 v13, -0.5, v90, v3
	v_fmac_f32_e32 v3, -0.5, v94
	v_sub_f32_e32 v71, v26, v20
	v_fmac_f32_e32 v6, 0xbf167918, v16
	v_fmac_f32_e32 v4, 0x3f167918, v16
	;; [unrolled: 1-line block ×4, first 2 shown]
	v_add_f32_e32 v15, v80, v25
	v_add_f32_e32 v25, v97, v48
	v_fmamk_f32 v16, v55, 0xbf737871, v10
	v_add_f32_e32 v48, v17, v20
	v_fmamk_f32 v17, v68, 0x3f737871, v11
	v_sub_f32_e32 v74, v20, v26
	v_add_f32_e32 v98, v18, v19
	v_fmamk_f32 v18, v59, 0x3f737871, v0
	v_fmac_f32_e32 v0, 0xbf737871, v59
	v_fmamk_f32 v19, v69, 0xbf737871, v1
	v_fmac_f32_e32 v1, 0x3f737871, v69
	v_sub_f32_e32 v85, v64, v60
	v_sub_f32_e32 v88, v60, v64
	;; [unrolled: 1-line block ×4, first 2 shown]
	v_fmac_f32_e32 v7, 0x3f167918, v53
	v_fmac_f32_e32 v5, 0xbf167918, v53
	;; [unrolled: 1-line block ×6, first 2 shown]
	v_add_f32_e32 v51, v22, v60
	v_fmamk_f32 v20, v82, 0xbf737871, v12
	v_fmac_f32_e32 v12, 0x3f737871, v82
	v_fmamk_f32 v22, v83, 0x3f737871, v2
	v_fmac_f32_e32 v2, 0xbf737871, v83
	v_add_f32_e32 v53, v23, v21
	v_fmamk_f32 v21, v52, 0x3f737871, v13
	v_fmac_f32_e32 v13, 0xbf737871, v52
	v_fmamk_f32 v23, v91, 0xbf737871, v3
	v_fmac_f32_e32 v3, 0x3f737871, v91
	v_add_f32_e32 v62, v70, v71
	v_fmac_f32_e32 v16, 0xbf167918, v59
	v_fmac_f32_e32 v17, 0x3f167918, v69
	v_add_f32_e32 v67, v73, v74
	v_fmac_f32_e32 v18, 0xbf167918, v55
	v_fmac_f32_e32 v0, 0x3f167918, v55
	;; [unrolled: 1-line block ×4, first 2 shown]
	v_add_f32_e32 v54, v84, v85
	v_add_f32_e32 v70, v87, v88
	;; [unrolled: 1-line block ×5, first 2 shown]
	v_fmac_f32_e32 v6, 0x3e9e377a, v65
	v_fmac_f32_e32 v7, 0x3e9e377a, v49
	v_fmac_f32_e32 v10, 0x3f167918, v59
	v_fmac_f32_e32 v11, 0xbf167918, v69
	v_fmac_f32_e32 v20, 0xbf167918, v83
	v_fmac_f32_e32 v12, 0x3f167918, v83
	v_fmac_f32_e32 v22, 0xbf167918, v82
	v_fmac_f32_e32 v2, 0x3f167918, v82
	v_fmac_f32_e32 v21, 0x3f167918, v91
	v_fmac_f32_e32 v13, 0xbf167918, v91
	v_fmac_f32_e32 v23, 0x3f167918, v52
	v_fmac_f32_e32 v3, 0xbf167918, v52
	v_fmac_f32_e32 v8, 0x3e9e377a, v66
	v_fmac_f32_e32 v44, 0x3e9e377a, v66
	v_fmac_f32_e32 v9, 0x3e9e377a, v24
	v_fmac_f32_e32 v45, 0x3e9e377a, v24
	v_fmac_f32_e32 v4, 0x3e9e377a, v65
	v_fmac_f32_e32 v5, 0x3e9e377a, v49
	v_add_f32_e32 v24, v25, v50
	v_add_f32_e32 v25, v48, v26
	v_fmac_f32_e32 v16, 0x3e9e377a, v98
	v_fmac_f32_e32 v17, 0x3e9e377a, v62
	;; [unrolled: 1-line block ×6, first 2 shown]
	v_add_f32_e32 v26, v51, v64
	v_add_f32_e32 v27, v53, v27
	v_fmac_f32_e32 v10, 0x3e9e377a, v98
	v_fmac_f32_e32 v11, 0x3e9e377a, v62
	;; [unrolled: 1-line block ×10, first 2 shown]
	ds_write2_b64 v75, v[14:15], v[6:7] offset1:17
	ds_write2_b64 v75, v[8:9], v[44:45] offset0:34 offset1:51
	ds_write_b64 v75, v[4:5] offset:544
	ds_write2_b64 v76, v[24:25], v[16:17] offset1:17
	ds_write2_b64 v76, v[18:19], v[0:1] offset0:34 offset1:51
	ds_write_b64 v76, v[10:11] offset:544
	;; [unrolled: 3-line block ×3, first 2 shown]
	s_and_saveexec_b32 s1, s0
	s_cbranch_execz .LBB0_24
; %bb.23:
	v_add_nc_u32_e32 v0, 0xff, v34
	v_mov_b32_e32 v1, 0xf0f1
	v_mul_u32_u24_sdwa v1, v0, v1 dst_sel:DWORD dst_unused:UNUSED_PAD src0_sel:WORD_0 src1_sel:DWORD
	v_lshrrev_b32_e32 v1, 20, v1
	v_mul_lo_u16 v1, v1, 17
	v_sub_nc_u16 v8, v0, v1
	v_lshlrev_b32_sdwa v4, v46, v8 dst_sel:DWORD dst_unused:UNUSED_PAD src0_sel:DWORD src1_sel:WORD_0
	v_lshlrev_b32_sdwa v8, v47, v8 dst_sel:DWORD dst_unused:UNUSED_PAD src0_sel:DWORD src1_sel:WORD_0
	s_clause 0x1
	global_load_dwordx4 v[0:3], v4, s[12:13]
	global_load_dwordx4 v[4:7], v4, s[12:13] offset:16
	v_add3_u32 v10, 0, v8, v58
	v_add_nc_u32_e32 v11, 0x2400, v10
	v_add_nc_u32_e32 v12, 0x2800, v10
	s_waitcnt vmcnt(1)
	v_mul_f32_e32 v8, v30, v3
	v_mul_f32_e32 v9, v40, v1
	s_waitcnt vmcnt(0)
	v_mul_f32_e32 v13, v42, v5
	v_mul_f32_e32 v14, v28, v7
	;; [unrolled: 1-line block ×6, first 2 shown]
	v_fma_f32 v5, v31, v2, -v8
	v_fma_f32 v3, v41, v0, -v9
	;; [unrolled: 1-line block ×4, first 2 shown]
	v_fmac_f32_e32 v15, v30, v2
	v_fmac_f32_e32 v16, v42, v4
	;; [unrolled: 1-line block ×4, first 2 shown]
	v_sub_f32_e32 v0, v5, v3
	v_sub_f32_e32 v2, v8, v9
	v_add_f32_e32 v18, v5, v8
	v_add_f32_e32 v27, v15, v16
	;; [unrolled: 1-line block ×5, first 2 shown]
	v_sub_f32_e32 v14, v1, v17
	v_sub_f32_e32 v6, v3, v5
	;; [unrolled: 1-line block ×4, first 2 shown]
	v_add_f32_e32 v28, v38, v1
	v_add_f32_e32 v29, v0, v2
	v_fma_f32 v3, -0.5, v18, v39
	v_fma_f32 v2, -0.5, v27, v38
	v_sub_f32_e32 v13, v15, v16
	v_sub_f32_e32 v20, v15, v1
	;; [unrolled: 1-line block ×4, first 2 shown]
	v_fma_f32 v1, -0.5, v4, v39
	v_add_f32_e32 v4, v19, v5
	v_fma_f32 v0, -0.5, v23, v38
	v_sub_f32_e32 v26, v17, v16
	v_add_f32_e32 v30, v6, v7
	v_add_f32_e32 v15, v28, v15
	v_fmamk_f32 v7, v14, 0xbf737871, v3
	v_fmac_f32_e32 v3, 0x3f737871, v14
	v_fmamk_f32 v6, v22, 0x3f737871, v2
	v_fmac_f32_e32 v2, 0xbf737871, v22
	v_sub_f32_e32 v21, v16, v17
	v_fmamk_f32 v5, v13, 0x3f737871, v1
	v_fmac_f32_e32 v1, 0xbf737871, v13
	v_add_f32_e32 v8, v4, v8
	v_fmamk_f32 v4, v24, 0xbf737871, v0
	v_fmac_f32_e32 v0, 0x3f737871, v24
	v_add_f32_e32 v19, v25, v26
	v_add_f32_e32 v15, v15, v16
	v_fmac_f32_e32 v3, 0x3f167918, v13
	v_fmac_f32_e32 v2, 0xbf167918, v24
	v_add_f32_e32 v18, v20, v21
	v_fmac_f32_e32 v5, 0xbf167918, v14
	v_fmac_f32_e32 v1, 0x3f167918, v14
	;; [unrolled: 1-line block ×6, first 2 shown]
	v_add_f32_e32 v9, v8, v9
	v_add_f32_e32 v8, v15, v17
	v_fmac_f32_e32 v3, 0x3e9e377a, v30
	v_fmac_f32_e32 v2, 0x3e9e377a, v19
	;; [unrolled: 1-line block ×8, first 2 shown]
	ds_write2_b64 v11, v[8:9], v[2:3] offset0:123 offset1:140
	ds_write2_b64 v12, v[0:1], v[4:5] offset0:29 offset1:46
	ds_write_b64 v10, v[6:7] offset:10744
.LBB0_24:
	s_or_b32 exec_lo, exec_lo, s1
	v_mul_u32_u24_e32 v0, 15, v34
	s_waitcnt lgkmcnt(0)
	s_barrier
	buffer_gl0_inv
	v_add_nc_u32_e32 v38, 0x400, v35
	v_lshlrev_b32_e32 v28, 3, v0
	v_add_nc_u32_e32 v69, 0x800, v35
	v_add_nc_u32_e32 v70, 0x1000, v35
	;; [unrolled: 1-line block ×4, first 2 shown]
	s_clause 0x7
	global_load_dwordx4 v[0:3], v28, s[12:13] offset:544
	global_load_dwordx4 v[4:7], v28, s[12:13] offset:560
	;; [unrolled: 1-line block ×7, first 2 shown]
	global_load_dwordx2 v[54:55], v28, s[12:13] offset:656
	v_add_nc_u32_e32 v72, 0x2000, v35
	ds_read2_b64 v[28:31], v35 offset0:85 offset1:170
	ds_read2_b64 v[38:41], v38 offset0:127 offset1:212
	;; [unrolled: 1-line block ×3, first 2 shown]
	ds_read_b64 v[65:66], v57
	ds_read_b64 v[67:68], v35 offset:10200
	ds_read2_b64 v[46:49], v70 offset0:83 offset1:168
	ds_read2_b64 v[50:53], v50 offset0:125 offset1:210
	;; [unrolled: 1-line block ×4, first 2 shown]
	v_add_nc_u32_e32 v73, 0xc00, v35
	v_add_nc_u32_e32 v74, 0x1c00, v35
	s_waitcnt vmcnt(0) lgkmcnt(0)
	s_barrier
	buffer_gl0_inv
	v_mul_f32_e32 v75, v1, v29
	v_mul_f32_e32 v1, v1, v28
	;; [unrolled: 1-line block ×30, first 2 shown]
	v_fmac_f32_e32 v75, v0, v28
	v_fma_f32 v0, v0, v29, -v1
	v_fmac_f32_e32 v76, v2, v30
	v_fma_f32 v1, v2, v31, -v3
	;; [unrolled: 2-line block ×15, first 2 shown]
	v_sub_f32_e32 v15, v65, v82
	v_sub_f32_e32 v7, v66, v7
	;; [unrolled: 1-line block ×16, first 2 shown]
	v_fma_f32 v23, v65, 2.0, -v15
	v_fma_f32 v24, v66, 2.0, -v7
	;; [unrolled: 1-line block ×16, first 2 shown]
	v_add_f32_e32 v11, v15, v11
	v_sub_f32_e32 v16, v7, v16
	v_add_f32_e32 v13, v17, v13
	v_sub_f32_e32 v18, v9, v18
	v_add_f32_e32 v12, v19, v12
	v_sub_f32_e32 v20, v8, v20
	v_add_f32_e32 v14, v21, v14
	v_sub_f32_e32 v22, v10, v22
	v_sub_f32_e32 v25, v23, v25
	v_sub_f32_e32 v3, v24, v3
	v_fma_f32 v15, v15, 2.0, -v11
	v_fma_f32 v7, v7, 2.0, -v16
	v_sub_f32_e32 v27, v26, v27
	v_sub_f32_e32 v5, v1, v5
	v_fma_f32 v17, v17, 2.0, -v13
	v_fma_f32 v9, v9, 2.0, -v18
	;; [unrolled: 4-line block ×4, first 2 shown]
	v_fmamk_f32 v38, v13, 0x3f3504f3, v11
	v_fmamk_f32 v39, v18, 0x3f3504f3, v16
	;; [unrolled: 1-line block ×4, first 2 shown]
	v_fma_f32 v23, v23, 2.0, -v25
	v_fma_f32 v24, v24, 2.0, -v3
	;; [unrolled: 1-line block ×8, first 2 shown]
	v_fmamk_f32 v30, v17, 0xbf3504f3, v15
	v_fmamk_f32 v43, v9, 0xbf3504f3, v7
	v_fmac_f32_e32 v38, 0x3f3504f3, v18
	v_fmamk_f32 v18, v21, 0xbf3504f3, v19
	v_fmamk_f32 v45, v10, 0xbf3504f3, v8
	v_add_f32_e32 v44, v25, v5
	v_sub_f32_e32 v27, v3, v27
	v_fmac_f32_e32 v39, 0xbf3504f3, v13
	v_add_f32_e32 v13, v29, v6
	v_sub_f32_e32 v31, v4, v31
	v_fmac_f32_e32 v40, 0x3f3504f3, v22
	v_fmac_f32_e32 v41, 0xbf3504f3, v14
	v_sub_f32_e32 v22, v23, v26
	v_sub_f32_e32 v26, v24, v1
	v_fmac_f32_e32 v30, 0x3f3504f3, v9
	v_fmac_f32_e32 v43, 0xbf3504f3, v17
	v_fma_f32 v47, v11, 2.0, -v38
	v_sub_f32_e32 v9, v28, v0
	v_sub_f32_e32 v11, v42, v2
	v_fmac_f32_e32 v18, 0x3f3504f3, v10
	v_fmac_f32_e32 v45, 0xbf3504f3, v21
	v_fma_f32 v25, v25, 2.0, -v44
	v_fma_f32 v46, v3, 2.0, -v27
	;; [unrolled: 1-line block ×7, first 2 shown]
	v_fmamk_f32 v0, v13, 0x3f3504f3, v44
	v_fmamk_f32 v1, v31, 0x3f3504f3, v27
	;; [unrolled: 1-line block ×4, first 2 shown]
	v_fma_f32 v24, v24, 2.0, -v26
	v_fma_f32 v29, v15, 2.0, -v30
	;; [unrolled: 1-line block ×8, first 2 shown]
	v_fmamk_f32 v4, v16, 0xbf3504f3, v25
	v_fmamk_f32 v5, v17, 0xbf3504f3, v46
	;; [unrolled: 1-line block ×4, first 2 shown]
	v_add_f32_e32 v8, v22, v11
	v_fmamk_f32 v10, v18, 0x3ec3ef15, v30
	v_fmamk_f32 v11, v45, 0x3ec3ef15, v43
	v_fmac_f32_e32 v0, 0x3f3504f3, v31
	v_fmac_f32_e32 v1, 0xbf3504f3, v13
	;; [unrolled: 1-line block ×4, first 2 shown]
	v_sub_f32_e32 v13, v24, v14
	v_fmamk_f32 v14, v28, 0xbf6c835e, v29
	v_fmamk_f32 v15, v42, 0xbf6c835e, v49
	v_sub_f32_e32 v12, v23, v12
	v_fmac_f32_e32 v4, 0x3f3504f3, v17
	v_fmac_f32_e32 v5, 0xbf3504f3, v16
	;; [unrolled: 1-line block ×4, first 2 shown]
	v_sub_f32_e32 v9, v26, v9
	v_fmac_f32_e32 v10, 0x3f6c835e, v45
	v_fmac_f32_e32 v11, 0xbf6c835e, v18
	v_fma_f32 v18, v44, 2.0, -v0
	v_fma_f32 v19, v27, 2.0, -v1
	;; [unrolled: 1-line block ×4, first 2 shown]
	v_fmac_f32_e32 v14, 0x3ec3ef15, v42
	v_fmac_f32_e32 v15, 0xbec3ef15, v28
	v_fma_f32 v16, v22, 2.0, -v8
	ds_write2_b64 v72, v[0:1], v[2:3] offset0:166 offset1:251
	v_fma_f32 v0, v23, 2.0, -v12
	v_fma_f32 v2, v25, 2.0, -v4
	;; [unrolled: 1-line block ×9, first 2 shown]
	ds_write2_b64 v73, v[18:19], v[20:21] offset0:126 offset1:211
	ds_write2_b64 v71, v[4:5], v[6:7] offset0:82 offset1:167
	v_fma_f32 v4, v29, 2.0, -v14
	v_fma_f32 v5, v49, 2.0, -v15
	ds_write2_b64 v74, v[8:9], v[10:11] offset0:124 offset1:209
	ds_write2_b64 v35, v[2:3], v[22:23] offset0:170 offset1:255
	;; [unrolled: 1-line block ×4, first 2 shown]
	ds_write2_b64 v35, v[0:1], v[4:5] offset1:85
	s_waitcnt lgkmcnt(0)
	s_barrier
	buffer_gl0_inv
	s_and_saveexec_b32 s0, vcc_lo
	s_cbranch_execz .LBB0_26
; %bb.25:
	v_mul_lo_u32 v0, s3, v36
	v_mul_lo_u32 v1, s2, v37
	v_mad_u64_u32 v[4:5], null, s2, v36, 0
	v_lshl_add_u32 v20, v34, 3, v56
	v_mov_b32_e32 v35, 0
	v_lshlrev_b64 v[8:9], 3, v[32:33]
	v_add_nc_u32_e32 v10, 0x55, v34
	v_add_nc_u32_e32 v12, 0xaa, v34
	;; [unrolled: 1-line block ×3, first 2 shown]
	v_add3_u32 v5, v5, v1, v0
	ds_read2_b64 v[0:3], v20 offset1:85
	v_mov_b32_e32 v11, v35
	v_lshlrev_b64 v[16:17], 3, v[34:35]
	v_mov_b32_e32 v13, v35
	v_lshlrev_b64 v[14:15], 3, v[4:5]
	ds_read2_b64 v[4:7], v20 offset0:170 offset1:255
	v_lshlrev_b64 v[10:11], 3, v[10:11]
	v_mov_b32_e32 v19, v35
	v_add_co_u32 v14, vcc_lo, s10, v14
	v_add_co_ci_u32_e32 v15, vcc_lo, s11, v15, vcc_lo
	v_add_co_u32 v21, vcc_lo, v14, v8
	v_add_co_ci_u32_e32 v22, vcc_lo, v15, v9, vcc_lo
	v_lshlrev_b64 v[8:9], 3, v[12:13]
	v_add_co_u32 v12, vcc_lo, v21, v16
	v_add_co_ci_u32_e32 v13, vcc_lo, v22, v17, vcc_lo
	v_add_co_u32 v10, vcc_lo, v21, v10
	v_add_co_ci_u32_e32 v11, vcc_lo, v22, v11, vcc_lo
	v_add_co_u32 v8, vcc_lo, v21, v8
	v_add_nc_u32_e32 v14, 0xff, v34
	v_mov_b32_e32 v15, v35
	v_add_co_ci_u32_e32 v9, vcc_lo, v22, v9, vcc_lo
	s_waitcnt lgkmcnt(1)
	global_store_dwordx2 v[12:13], v[0:1], off
	global_store_dwordx2 v[10:11], v[2:3], off
	s_waitcnt lgkmcnt(0)
	global_store_dwordx2 v[8:9], v[4:5], off
	v_lshlrev_b64 v[0:1], 3, v[14:15]
	v_add_nc_u32_e32 v2, 0x800, v20
	v_add_nc_u32_e32 v8, 0x1a9, v34
	v_mov_b32_e32 v9, v35
	v_add_nc_u32_e32 v10, 0xc00, v20
	v_add_nc_u32_e32 v4, 0x154, v34
	v_mov_b32_e32 v5, v35
	v_add_co_u32 v12, vcc_lo, v21, v0
	v_add_co_ci_u32_e32 v13, vcc_lo, v22, v1, vcc_lo
	ds_read2_b64 v[0:3], v2 offset0:84 offset1:169
	v_lshlrev_b64 v[14:15], 3, v[8:9]
	ds_read2_b64 v[8:11], v10 offset0:126 offset1:211
	v_lshlrev_b64 v[4:5], 3, v[4:5]
	v_add_nc_u32_e32 v16, 0x1fe, v34
	v_mov_b32_e32 v17, v35
	v_add_co_u32 v4, vcc_lo, v21, v4
	v_lshlrev_b64 v[16:17], 3, v[16:17]
	v_add_co_ci_u32_e32 v5, vcc_lo, v22, v5, vcc_lo
	v_add_co_u32 v14, vcc_lo, v21, v14
	v_add_co_ci_u32_e32 v15, vcc_lo, v22, v15, vcc_lo
	v_add_co_u32 v16, vcc_lo, v21, v16
	v_add_co_ci_u32_e32 v17, vcc_lo, v22, v17, vcc_lo
	global_store_dwordx2 v[12:13], v[6:7], off
	s_waitcnt lgkmcnt(1)
	global_store_dwordx2 v[4:5], v[0:1], off
	global_store_dwordx2 v[14:15], v[2:3], off
	s_waitcnt lgkmcnt(0)
	global_store_dwordx2 v[16:17], v[8:9], off
	v_lshlrev_b64 v[0:1], 3, v[18:19]
	v_add_nc_u32_e32 v2, 0x1000, v20
	v_add_nc_u32_e32 v4, 0x2a8, v34
	v_mov_b32_e32 v5, v35
	v_add_nc_u32_e32 v6, 0x2fd, v34
	v_mov_b32_e32 v7, v35
	v_add_nc_u32_e32 v17, 0x1800, v20
	v_add_co_u32 v8, vcc_lo, v21, v0
	v_add_co_ci_u32_e32 v9, vcc_lo, v22, v1, vcc_lo
	ds_read2_b64 v[0:3], v2 offset0:168 offset1:253
	v_lshlrev_b64 v[12:13], 3, v[4:5]
	v_lshlrev_b64 v[14:15], 3, v[6:7]
	ds_read2_b64 v[4:7], v17 offset0:82 offset1:167
	v_add_nc_u32_e32 v16, 0x352, v34
	v_mov_b32_e32 v17, v35
	v_add_nc_u32_e32 v18, 0x3a7, v34
	v_add_co_u32 v12, vcc_lo, v21, v12
	v_add_co_ci_u32_e32 v13, vcc_lo, v22, v13, vcc_lo
	v_lshlrev_b64 v[16:17], 3, v[16:17]
	v_add_co_u32 v14, vcc_lo, v21, v14
	v_add_co_ci_u32_e32 v15, vcc_lo, v22, v15, vcc_lo
	v_add_co_u32 v16, vcc_lo, v21, v16
	v_add_co_ci_u32_e32 v17, vcc_lo, v22, v17, vcc_lo
	global_store_dwordx2 v[8:9], v[10:11], off
	s_waitcnt lgkmcnt(1)
	global_store_dwordx2 v[12:13], v[0:1], off
	global_store_dwordx2 v[14:15], v[2:3], off
	s_waitcnt lgkmcnt(0)
	global_store_dwordx2 v[16:17], v[4:5], off
	v_lshlrev_b64 v[0:1], 3, v[18:19]
	v_add_nc_u32_e32 v2, 0x1c00, v20
	v_add_nc_u32_e32 v4, 0x3fc, v34
	v_mov_b32_e32 v5, v35
	v_add_nc_u32_e32 v8, 0x451, v34
	v_mov_b32_e32 v9, v35
	v_add_nc_u32_e32 v10, 0x2000, v20
	v_add_co_u32 v12, vcc_lo, v21, v0
	v_add_co_ci_u32_e32 v13, vcc_lo, v22, v1, vcc_lo
	ds_read2_b64 v[0:3], v2 offset0:124 offset1:209
	v_lshlrev_b64 v[4:5], 3, v[4:5]
	v_lshlrev_b64 v[14:15], 3, v[8:9]
	v_add_nc_u32_e32 v16, 0x4a6, v34
	v_mov_b32_e32 v17, v35
	ds_read2_b64 v[8:11], v10 offset0:166 offset1:251
	v_add_nc_u32_e32 v34, 0x4fb, v34
	v_add_co_u32 v4, vcc_lo, v21, v4
	v_lshlrev_b64 v[16:17], 3, v[16:17]
	v_add_co_ci_u32_e32 v5, vcc_lo, v22, v5, vcc_lo
	v_add_co_u32 v14, vcc_lo, v21, v14
	v_lshlrev_b64 v[18:19], 3, v[34:35]
	v_add_co_ci_u32_e32 v15, vcc_lo, v22, v15, vcc_lo
	v_add_co_u32 v16, vcc_lo, v21, v16
	v_add_co_ci_u32_e32 v17, vcc_lo, v22, v17, vcc_lo
	v_add_co_u32 v18, vcc_lo, v21, v18
	v_add_co_ci_u32_e32 v19, vcc_lo, v22, v19, vcc_lo
	global_store_dwordx2 v[12:13], v[6:7], off
	s_waitcnt lgkmcnt(1)
	global_store_dwordx2 v[4:5], v[0:1], off
	global_store_dwordx2 v[14:15], v[2:3], off
	s_waitcnt lgkmcnt(0)
	global_store_dwordx2 v[16:17], v[8:9], off
	global_store_dwordx2 v[18:19], v[10:11], off
.LBB0_26:
	s_endpgm
	.section	.rodata,"a",@progbits
	.p2align	6, 0x0
	.amdhsa_kernel fft_rtc_back_len1360_factors_17_5_16_wgs_255_tpt_85_halfLds_sp_op_CI_CI_unitstride_sbrr_C2R_dirReg
		.amdhsa_group_segment_fixed_size 0
		.amdhsa_private_segment_fixed_size 0
		.amdhsa_kernarg_size 104
		.amdhsa_user_sgpr_count 6
		.amdhsa_user_sgpr_private_segment_buffer 1
		.amdhsa_user_sgpr_dispatch_ptr 0
		.amdhsa_user_sgpr_queue_ptr 0
		.amdhsa_user_sgpr_kernarg_segment_ptr 1
		.amdhsa_user_sgpr_dispatch_id 0
		.amdhsa_user_sgpr_flat_scratch_init 0
		.amdhsa_user_sgpr_private_segment_size 0
		.amdhsa_wavefront_size32 1
		.amdhsa_uses_dynamic_stack 0
		.amdhsa_system_sgpr_private_segment_wavefront_offset 0
		.amdhsa_system_sgpr_workgroup_id_x 1
		.amdhsa_system_sgpr_workgroup_id_y 0
		.amdhsa_system_sgpr_workgroup_id_z 0
		.amdhsa_system_sgpr_workgroup_info 0
		.amdhsa_system_vgpr_workitem_id 0
		.amdhsa_next_free_vgpr 218
		.amdhsa_next_free_sgpr 27
		.amdhsa_reserve_vcc 1
		.amdhsa_reserve_flat_scratch 0
		.amdhsa_float_round_mode_32 0
		.amdhsa_float_round_mode_16_64 0
		.amdhsa_float_denorm_mode_32 3
		.amdhsa_float_denorm_mode_16_64 3
		.amdhsa_dx10_clamp 1
		.amdhsa_ieee_mode 1
		.amdhsa_fp16_overflow 0
		.amdhsa_workgroup_processor_mode 1
		.amdhsa_memory_ordered 1
		.amdhsa_forward_progress 0
		.amdhsa_shared_vgpr_count 0
		.amdhsa_exception_fp_ieee_invalid_op 0
		.amdhsa_exception_fp_denorm_src 0
		.amdhsa_exception_fp_ieee_div_zero 0
		.amdhsa_exception_fp_ieee_overflow 0
		.amdhsa_exception_fp_ieee_underflow 0
		.amdhsa_exception_fp_ieee_inexact 0
		.amdhsa_exception_int_div_zero 0
	.end_amdhsa_kernel
	.text
.Lfunc_end0:
	.size	fft_rtc_back_len1360_factors_17_5_16_wgs_255_tpt_85_halfLds_sp_op_CI_CI_unitstride_sbrr_C2R_dirReg, .Lfunc_end0-fft_rtc_back_len1360_factors_17_5_16_wgs_255_tpt_85_halfLds_sp_op_CI_CI_unitstride_sbrr_C2R_dirReg
                                        ; -- End function
	.section	.AMDGPU.csdata,"",@progbits
; Kernel info:
; codeLenInByte = 13108
; NumSgprs: 29
; NumVgprs: 218
; ScratchSize: 0
; MemoryBound: 0
; FloatMode: 240
; IeeeMode: 1
; LDSByteSize: 0 bytes/workgroup (compile time only)
; SGPRBlocks: 3
; VGPRBlocks: 27
; NumSGPRsForWavesPerEU: 29
; NumVGPRsForWavesPerEU: 218
; Occupancy: 4
; WaveLimiterHint : 1
; COMPUTE_PGM_RSRC2:SCRATCH_EN: 0
; COMPUTE_PGM_RSRC2:USER_SGPR: 6
; COMPUTE_PGM_RSRC2:TRAP_HANDLER: 0
; COMPUTE_PGM_RSRC2:TGID_X_EN: 1
; COMPUTE_PGM_RSRC2:TGID_Y_EN: 0
; COMPUTE_PGM_RSRC2:TGID_Z_EN: 0
; COMPUTE_PGM_RSRC2:TIDIG_COMP_CNT: 0
	.text
	.p2alignl 6, 3214868480
	.fill 48, 4, 3214868480
	.type	__hip_cuid_5ecdb5e437464163,@object ; @__hip_cuid_5ecdb5e437464163
	.section	.bss,"aw",@nobits
	.globl	__hip_cuid_5ecdb5e437464163
__hip_cuid_5ecdb5e437464163:
	.byte	0                               ; 0x0
	.size	__hip_cuid_5ecdb5e437464163, 1

	.ident	"AMD clang version 19.0.0git (https://github.com/RadeonOpenCompute/llvm-project roc-6.4.0 25133 c7fe45cf4b819c5991fe208aaa96edf142730f1d)"
	.section	".note.GNU-stack","",@progbits
	.addrsig
	.addrsig_sym __hip_cuid_5ecdb5e437464163
	.amdgpu_metadata
---
amdhsa.kernels:
  - .args:
      - .actual_access:  read_only
        .address_space:  global
        .offset:         0
        .size:           8
        .value_kind:     global_buffer
      - .offset:         8
        .size:           8
        .value_kind:     by_value
      - .actual_access:  read_only
        .address_space:  global
        .offset:         16
        .size:           8
        .value_kind:     global_buffer
      - .actual_access:  read_only
        .address_space:  global
        .offset:         24
        .size:           8
        .value_kind:     global_buffer
      - .actual_access:  read_only
        .address_space:  global
        .offset:         32
        .size:           8
        .value_kind:     global_buffer
      - .offset:         40
        .size:           8
        .value_kind:     by_value
      - .actual_access:  read_only
        .address_space:  global
        .offset:         48
        .size:           8
        .value_kind:     global_buffer
      - .actual_access:  read_only
        .address_space:  global
        .offset:         56
        .size:           8
        .value_kind:     global_buffer
      - .offset:         64
        .size:           4
        .value_kind:     by_value
      - .actual_access:  read_only
        .address_space:  global
        .offset:         72
        .size:           8
        .value_kind:     global_buffer
      - .actual_access:  read_only
        .address_space:  global
        .offset:         80
        .size:           8
        .value_kind:     global_buffer
      - .actual_access:  read_only
        .address_space:  global
        .offset:         88
        .size:           8
        .value_kind:     global_buffer
      - .actual_access:  write_only
        .address_space:  global
        .offset:         96
        .size:           8
        .value_kind:     global_buffer
    .group_segment_fixed_size: 0
    .kernarg_segment_align: 8
    .kernarg_segment_size: 104
    .language:       OpenCL C
    .language_version:
      - 2
      - 0
    .max_flat_workgroup_size: 255
    .name:           fft_rtc_back_len1360_factors_17_5_16_wgs_255_tpt_85_halfLds_sp_op_CI_CI_unitstride_sbrr_C2R_dirReg
    .private_segment_fixed_size: 0
    .sgpr_count:     29
    .sgpr_spill_count: 0
    .symbol:         fft_rtc_back_len1360_factors_17_5_16_wgs_255_tpt_85_halfLds_sp_op_CI_CI_unitstride_sbrr_C2R_dirReg.kd
    .uniform_work_group_size: 1
    .uses_dynamic_stack: false
    .vgpr_count:     218
    .vgpr_spill_count: 0
    .wavefront_size: 32
    .workgroup_processor_mode: 1
amdhsa.target:   amdgcn-amd-amdhsa--gfx1030
amdhsa.version:
  - 1
  - 2
...

	.end_amdgpu_metadata
